;; amdgpu-corpus repo=ROCm/aiter kind=harvested arch=n/a opt=n/a

/root/src/amdgpu-assembly/repos/ROCm__aiter/hsa/gfx942/fmoe_2stages/fmoe_stage1_bf16_pertokenFp8_g1u1_128x64_pf3.co:	file format elf64-amdgpu

Disassembly of section .text:

0000000000002a00 <_ZN5aiter44fmoe_stage1_bf16_pertokenFp8_g1u1_128x64_pf3E>:
	s_and_b32 s1, s1, 0xffff                                   // 000000002A00: 8601FF01 0000FFFF
	s_load_dwordx2 s[8:9], s[0:1], 0x0                         // 000000002A08: C0060200 00000000
	s_load_dwordx2 s[20:21], s[0:1], 0x10                      // 000000002A10: C0060500 00000010
	s_load_dwordx2 s[24:25], s[0:1], 0x20                      // 000000002A18: C0060600 00000020
	s_load_dwordx2 s[48:49], s[0:1], 0x30                      // 000000002A20: C0060C00 00000030
	s_load_dwordx2 s[28:29], s[0:1], 0x40                      // 000000002A28: C0060700 00000040
	s_load_dwordx2 s[32:33], s[0:1], 0x50                      // 000000002A30: C0060800 00000050
	s_load_dwordx2 s[36:37], s[0:1], 0x60                      // 000000002A38: C0060900 00000060
	s_load_dwordx2 s[12:13], s[0:1], 0x70                      // 000000002A40: C0060300 00000070
	s_load_dwordx2 s[44:45], s[0:1], 0x80                      // 000000002A48: C0060B00 00000080
	s_mov_b32 s89, 0                                           // 000000002A50: BED90080
	s_load_dword s64, s[0:1], 0x90                             // 000000002A54: C0021000 00000090
	s_load_dword s65, s[0:1], 0xa0                             // 000000002A5C: C0021040 000000A0
	s_load_dword s66, s[0:1], 0xb0                             // 000000002A64: C0021080 000000B0
	s_load_dword s67, s[0:1], 0xc0                             // 000000002A6C: C00210C0 000000C0
	s_load_dword s68, s[0:1], 0xd0                             // 000000002A74: C0021100 000000D0
	s_load_dword s69, s[0:1], 0xe0                             // 000000002A7C: C0021140 000000E0
	s_load_dword s71, s[0:1], 0xf0                             // 000000002A84: C00211C0 000000F0
	s_load_dword s72, s[0:1], 0x100                            // 000000002A8C: C0021200 00000100
	s_load_dword s74, s[0:1], 0x110                            // 000000002A94: C0021280 00000110
	s_load_dword s76, s[0:1], 0x120                            // 000000002A9C: C0021300 00000120
	s_load_dword s56, s[0:1], 0x130                            // 000000002AA4: C0020E00 00000130
	s_load_dword s88, s[0:1], 0x140                            // 000000002AAC: C0021600 00000140
	s_load_dword s89, s[0:1], 0x150                            // 000000002AB4: C0021640 00000150
	v_lshrrev_b32_e32 v1, 10, v0                               // 000000002ABC: 2002008A
	v_lshrrev_b32_e32 v2, 10, v1                               // 000000002AC0: 2004028A
	v_and_b32_e32 v2, 0x3ff, v2                                // 000000002AC4: 260404FF 000003FF
	v_and_b32_e32 v1, 0x3ff, v1                                // 000000002ACC: 260202FF 000003FF
	v_and_b32_e32 v0, 0x3ff, v0                                // 000000002AD4: 260000FF 000003FF
	v_lshrrev_b32_e32 v3, 6, v0                                // 000000002ADC: 20060086
	v_and_b32_e32 v0, 63, v0                                   // 000000002AE0: 260000BF
	s_mov_b32 s2, s2                                           // 000000002AE4: BE820002
	s_mov_b32 s3, s3                                           // 000000002AE8: BE830003
	s_mov_b32 s4, s4                                           // 000000002AEC: BE840004
	v_readfirstlane_b32 s7, v3                                 // 000000002AF0: 7E0E0503
	s_waitcnt lgkmcnt(0)                                       // 000000002AF4: BF8CC07F
	s_and_b32 s49, s49, 0xffff                                 // 000000002AF8: 8631FF31 0000FFFF
	s_load_dword s48, s[48:49], 0x0                            // 000000002B00: C0020C18 00000000
	s_and_b32 s45, s45, 0xffff                                 // 000000002B08: 862DFF2D 0000FFFF
	s_and_b32 s9, s9, 0xffff                                   // 000000002B10: 8609FF09 0000FFFF
	s_mul_i32 s60, s66, s68                                    // 000000002B18: 923C4442
	s_mul_i32 s61, s66, 4                                      // 000000002B1C: 923D8442
	s_mov_b32 s22, s60                                         // 000000002B20: BE96003C
	s_mov_b32 s26, -16                                         // 000000002B24: BE9A00D0
	s_mov_b32 s30, s61                                         // 000000002B28: BE9E003D
	s_mov_b32 s14, 0x200                                       // 000000002B2C: BE8E00FF 00000200
	s_mov_b32 s38, -16                                         // 000000002B34: BEA600D0
	s_mov_b32 s10, -16                                         // 000000002B38: BE8A00D0
	s_mov_b32 s34, 0x100                                       // 000000002B3C: BEA200FF 00000100
	s_mov_b32 s23, 0x20000                                     // 000000002B44: BE9700FF 00020000
	s_mov_b32 s27, 0x20000                                     // 000000002B4C: BE9B00FF 00020000
	s_mov_b32 s31, 0x20000                                     // 000000002B54: BE9F00FF 00020000
	s_mov_b32 s35, 0x20000                                     // 000000002B5C: BEA300FF 00020000
	s_mov_b32 s15, 0x20000                                     // 000000002B64: BE8F00FF 00020000
	s_mov_b32 s39, 0x20000                                     // 000000002B6C: BEA700FF 00020000
	s_mov_b32 s11, 0x20000                                     // 000000002B74: BE8B00FF 00020000
	s_and_b32 s21, s21, 0xffff                                 // 000000002B7C: 8615FF15 0000FFFF
	s_and_b32 s25, s25, 0xffff                                 // 000000002B84: 8619FF19 0000FFFF
	s_and_b32 s29, s29, 0xffff                                 // 000000002B8C: 861DFF1D 0000FFFF
	s_and_b32 s33, s33, 0xffff                                 // 000000002B94: 8621FF21 0000FFFF
	s_and_b32 s13, s13, 0xffff                                 // 000000002B9C: 860DFF0D 0000FFFF
	s_and_b32 s37, s37, 0xffff                                 // 000000002BA4: 8625FF25 0000FFFF
	s_or_b32 s21, s21, 0x40000                                 // 000000002BAC: 8715FF15 00040000
	s_or_b32 s25, s25, 0x40000                                 // 000000002BB4: 8719FF19 00040000
	s_or_b32 s29, s29, 0x40000                                 // 000000002BBC: 871DFF1D 00040000
	s_or_b32 s33, s33, 0x40000                                 // 000000002BC4: 8721FF21 00040000
	s_or_b32 s13, s13, 0x40000                                 // 000000002BCC: 870DFF0D 00040000
	s_or_b32 s37, s37, 0x40000                                 // 000000002BD4: 8725FF25 00040000
	v_accvgpr_write_b32 a151, 0                                // 000000002BDC: D3D94097 18000080
	v_mov_b32_e32 v143, 0                                      // 000000002BE4: 7F1E0280
	s_waitcnt lgkmcnt(0)                                       // 000000002BE8: BF8CC07F
	s_mul_i32 s60, s3, 0x80                                    // 000000002BEC: 923CFF03 00000080
	s_cmp_lt_i32 s60, s48                                      // 000000002BF4: BF04303C
	s_cbranch_scc0 label_2A63                                  // 000000002BF8: BF8429E1
	s_mov_b32 s80, 0                                           // 000000002BFC: BED00080
	s_lshr_b32 s81, s64, s88                                   // 000000002C00: 8F515840
	s_mul_i32 s60, s3, 4                                       // 000000002C04: 923C8403
	s_add_u32 s44, s60, s44                                    // 000000002C08: 802C2C3C
	s_addc_u32 s45, 0, s45                                     // 000000002C0C: 822D2D80
	s_load_dword s5, s[44:45], 0x0                             // 000000002C10: C0020156 00000000
	s_mul_i32 s60, s3, 0x80                                    // 000000002C18: 923CFF03 00000080
	s_mul_i32 s60, 4, s60                                      // 000000002C20: 923C3C84
	s_add_u32 s12, s60, s12                                    // 000000002C24: 800C0C3C
	s_addc_u32 s13, 0, s13                                     // 000000002C28: 820D0D80
	v_and_b32_e32 v4, 15, v0                                   // 000000002C2C: 2608008F
	v_lshlrev_b32_e32 v4, 2, v4                                // 000000002C30: 24080882
	buffer_load_dword v30, v4, s[12:15], 0 offen               // 000000002C34: E0501000 80031E04
	v_add_u32_e32 v4, 64, v4                                   // 000000002C3C: 680808C0
	buffer_load_dword v31, v4, s[12:15], 0 offen               // 000000002C40: E0501000 80031F04
	v_add_u32_e32 v4, 64, v4                                   // 000000002C48: 680808C0
	buffer_load_dword v32, v4, s[12:15], 0 offen               // 000000002C4C: E0501000 80032004
	v_add_u32_e32 v4, 64, v4                                   // 000000002C54: 680808C0
	buffer_load_dword v33, v4, s[12:15], 0 offen               // 000000002C58: E0501000 80032104
	v_add_u32_e32 v4, 64, v4                                   // 000000002C60: 680808C0
	buffer_load_dword v34, v4, s[12:15], 0 offen               // 000000002C64: E0501000 80032204
	v_add_u32_e32 v4, 64, v4                                   // 000000002C6C: 680808C0
	buffer_load_dword v35, v4, s[12:15], 0 offen               // 000000002C70: E0501000 80032304
	v_add_u32_e32 v4, 64, v4                                   // 000000002C78: 680808C0
	buffer_load_dword v36, v4, s[12:15], 0 offen               // 000000002C7C: E0501000 80032404
	v_add_u32_e32 v4, 64, v4                                   // 000000002C84: 680808C0
	buffer_load_dword v37, v4, s[12:15], 0 offen               // 000000002C88: E0501000 80032504
	v_add_u32_e32 v4, 64, v4                                   // 000000002C90: 680808C0
	s_mul_i32 s60, 4, s7                                       // 000000002C94: 923C0784
	v_lshlrev_b32_e32 v4, 4, v0                                // 000000002C98: 24080084
	v_add_u32_e32 v4, s60, v4                                  // 000000002C9C: 6808083C
	buffer_load_dword v3, v4, s[12:15], 0 offen                // 000000002CA0: E0501000 80030304
	v_mov_b32_e32 v80, 0                                       // 000000002CA8: 7EA00280
	v_mov_b32_e32 v112, 0                                      // 000000002CAC: 7EE00280
	v_mov_b32_e32 v81, 0                                       // 000000002CB0: 7EA20280
	v_mov_b32_e32 v113, 0                                      // 000000002CB4: 7EE20280
	v_mov_b32_e32 v82, 0                                       // 000000002CB8: 7EA40280
	v_mov_b32_e32 v114, 0                                      // 000000002CBC: 7EE40280
	v_mov_b32_e32 v83, 0                                       // 000000002CC0: 7EA60280
	v_mov_b32_e32 v115, 0                                      // 000000002CC4: 7EE60280
	v_mov_b32_e32 v84, 0                                       // 000000002CC8: 7EA80280
	v_mov_b32_e32 v116, 0                                      // 000000002CCC: 7EE80280
	v_mov_b32_e32 v85, 0                                       // 000000002CD0: 7EAA0280
	v_mov_b32_e32 v117, 0                                      // 000000002CD4: 7EEA0280
	v_mov_b32_e32 v86, 0                                       // 000000002CD8: 7EAC0280
	v_mov_b32_e32 v118, 0                                      // 000000002CDC: 7EEC0280
	v_mov_b32_e32 v87, 0                                       // 000000002CE0: 7EAE0280
	v_mov_b32_e32 v119, 0                                      // 000000002CE4: 7EEE0280
	v_mov_b32_e32 v88, 0                                       // 000000002CE8: 7EB00280
	v_mov_b32_e32 v120, 0                                      // 000000002CEC: 7EF00280
	v_mov_b32_e32 v89, 0                                       // 000000002CF0: 7EB20280
	v_mov_b32_e32 v121, 0                                      // 000000002CF4: 7EF20280
	v_mov_b32_e32 v90, 0                                       // 000000002CF8: 7EB40280
	v_mov_b32_e32 v122, 0                                      // 000000002CFC: 7EF40280
	v_mov_b32_e32 v91, 0                                       // 000000002D00: 7EB60280
	v_mov_b32_e32 v123, 0                                      // 000000002D04: 7EF60280
	v_mov_b32_e32 v92, 0                                       // 000000002D08: 7EB80280
	v_mov_b32_e32 v124, 0                                      // 000000002D0C: 7EF80280
	v_mov_b32_e32 v93, 0                                       // 000000002D10: 7EBA0280
	v_mov_b32_e32 v125, 0                                      // 000000002D14: 7EFA0280
	v_mov_b32_e32 v94, 0                                       // 000000002D18: 7EBC0280
	v_mov_b32_e32 v126, 0                                      // 000000002D1C: 7EFC0280
	v_mov_b32_e32 v95, 0                                       // 000000002D20: 7EBE0280
	v_mov_b32_e32 v127, 0                                      // 000000002D24: 7EFE0280
	v_mov_b32_e32 v96, 0                                       // 000000002D28: 7EC00280
	v_mov_b32_e32 v128, 0                                      // 000000002D2C: 7F000280
	v_mov_b32_e32 v97, 0                                       // 000000002D30: 7EC20280
	v_mov_b32_e32 v129, 0                                      // 000000002D34: 7F020280
	v_mov_b32_e32 v98, 0                                       // 000000002D38: 7EC40280
	v_mov_b32_e32 v130, 0                                      // 000000002D3C: 7F040280
	v_mov_b32_e32 v99, 0                                       // 000000002D40: 7EC60280
	v_mov_b32_e32 v131, 0                                      // 000000002D44: 7F060280
	v_mov_b32_e32 v100, 0                                      // 000000002D48: 7EC80280
	v_mov_b32_e32 v132, 0                                      // 000000002D4C: 7F080280
	v_mov_b32_e32 v101, 0                                      // 000000002D50: 7ECA0280
	v_mov_b32_e32 v133, 0                                      // 000000002D54: 7F0A0280
	v_mov_b32_e32 v102, 0                                      // 000000002D58: 7ECC0280
	v_mov_b32_e32 v134, 0                                      // 000000002D5C: 7F0C0280
	v_mov_b32_e32 v103, 0                                      // 000000002D60: 7ECE0280
	v_mov_b32_e32 v135, 0                                      // 000000002D64: 7F0E0280
	v_mov_b32_e32 v104, 0                                      // 000000002D68: 7ED00280
	v_mov_b32_e32 v136, 0                                      // 000000002D6C: 7F100280
	v_mov_b32_e32 v105, 0                                      // 000000002D70: 7ED20280
	v_mov_b32_e32 v137, 0                                      // 000000002D74: 7F120280
	v_mov_b32_e32 v106, 0                                      // 000000002D78: 7ED40280
	v_mov_b32_e32 v138, 0                                      // 000000002D7C: 7F140280
	v_mov_b32_e32 v107, 0                                      // 000000002D80: 7ED60280
	v_mov_b32_e32 v139, 0                                      // 000000002D84: 7F160280
	v_mov_b32_e32 v108, 0                                      // 000000002D88: 7ED80280
	v_mov_b32_e32 v140, 0                                      // 000000002D8C: 7F180280
	v_mov_b32_e32 v109, 0                                      // 000000002D90: 7EDA0280
	v_mov_b32_e32 v141, 0                                      // 000000002D94: 7F1A0280
	v_mov_b32_e32 v110, 0                                      // 000000002D98: 7EDC0280
	v_mov_b32_e32 v142, 0                                      // 000000002D9C: 7F1C0280
	v_mov_b32_e32 v111, 0                                      // 000000002DA0: 7EDE0280
	v_mov_b32_e32 v143, 0                                      // 000000002DA4: 7F1E0280
	s_mul_i32 s60, s2, 0x80                                    // 000000002DA8: 923CFF02 00000080
	s_cmp_eq_u32 s88, 0                                        // 000000002DB0: BF068058
	s_cselect_b32 s61, 1, 2                                    // 000000002DB4: 853D8281
	s_mul_i32 s60, s60, s61                                    // 000000002DB8: 923C3D3C
	s_mov_b32 s90, s8                                          // 000000002DBC: BEDA0008
	s_mov_b32 s91, s9                                          // 000000002DC0: BEDB0009
	s_add_u32 s8, s60, s8                                      // 000000002DC4: 8008083C
	s_addc_u32 s9, 0, s9                                       // 000000002DC8: 82090980
	v_lshrrev_b32_e32 v4, 4, v0                                // 000000002DCC: 20080084
	v_mul_lo_u32 v20, 34, v4                                   // 000000002DD0: D2850014 000208A2
	v_and_b32_e32 v4, 15, v0                                   // 000000002DD8: 2608008F
	v_mul_lo_u32 v5, 2, v4                                     // 000000002DDC: D2850005 00020882
	v_add_u32_e32 v20, v5, v20                                 // 000000002DE4: 68282905
	s_mul_i32 s60, s7, 0x88                                    // 000000002DE8: 923CFF07 00000088
	v_add_u32_e32 v20, s60, v20                                // 000000002DF0: 6828283C
	v_lshlrev_b32_e32 v20, 2, v20                              // 000000002DF4: 24282882
	v_and_b32_e32 v4, 31, v0                                   // 000000002DF8: 2608009F
	v_lshrrev_b32_e32 v4, 1, v4                                // 000000002DFC: 20080881
	v_mul_lo_u32 v21, 34, v4                                   // 000000002E00: D2850015 000208A2
	v_lshrrev_b32_e32 v4, 5, v0                                // 000000002E08: 20080085
	v_mul_lo_u32 v4, 8, v4                                     // 000000002E0C: D2850004 00020888
	v_add_u32_e32 v21, v21, v4                                 // 000000002E14: 682A0915
	v_and_b32_e32 v5, 1, v0                                    // 000000002E18: 260A0081
	v_add_u32_e32 v21, v5, v21                                 // 000000002E1C: 682A2B05
	s_mul_i32 s60, s7, 2                                       // 000000002E20: 923C8207
	v_add_u32_e32 v21, s60, v21                                // 000000002E24: 682A2A3C
	v_lshlrev_b32_e32 v21, 2, v21                              // 000000002E28: 242A2A82
	s_mul_i32 s60, s7, 0x1020                                  // 000000002E2C: 923CFF07 00001020
	s_add_u32 s48, 0, s60                                      // 000000002E34: 80303C80
	s_add_u32 s49, 0x4080, s48                                 // 000000002E38: 803130FF 00004080
	s_add_u32 s50, 0x4080, s49                                 // 000000002E40: 803231FF 00004080
	v_lshrrev_b32_e32 v4, 4, v0                                // 000000002E48: 20080084
	v_lshlrev_b32_e32 v5, 2, v4                                // 000000002E4C: 240A0882
	v_and_b32_e32 v4, 15, v0                                   // 000000002E50: 2608008F
	v_lshrrev_b32_e32 v6, 2, v4                                // 000000002E54: 200C0882
	v_lshlrev_b32_e32 v6, 5, v6                                // 000000002E58: 240C0C85
	v_add_u32_e32 v5, v6, v5                                   // 000000002E5C: 680A0B06
	v_and_b32_e32 v4, 3, v0                                    // 000000002E60: 26080083
	v_mul_u32_u24_e32 v6, 0x408, v4                            // 000000002E64: 100C08FF 00000408
	v_add_u32_e32 v5, v6, v5                                   // 000000002E6C: 680A0B06
	v_lshlrev_b32_e32 v2, 2, v5                                // 000000002E70: 24040A82
	s_waitcnt lgkmcnt(0)                                       // 000000002E74: BF8CC07F
	s_mul_i32 s60, s2, 64                                      // 000000002E78: 923CC002
	s_mul_i32 s60, s60, s69                                    // 000000002E7C: 923C453C
	s_mul_i32 s61, s5, s72                                     // 000000002E80: 923D4805
	s_add_u32 s60, s61, s60                                    // 000000002E84: 803C3C3D
	s_add_u32 s24, s60, s24                                    // 000000002E88: 8018183C
	s_addc_u32 s25, 0, s25                                     // 000000002E8C: 82191980
	s_lshr_b32 s60, s64, s88                                   // 000000002E90: 8F3C5840
	s_mul_i32 s60, s4, s60                                     // 000000002E94: 923C3C04
	s_lshr_b32 s60, s60, 7                                     // 000000002E98: 8F3C873C
	s_mul_i32 s60, s60, 0x800                                  // 000000002E9C: 923CFF3C 00000800
	s_add_u32 s24, s60, s24                                    // 000000002EA4: 8018183C
	s_addc_u32 s25, 0, s25                                     // 000000002EA8: 82191980
	s_lshr_b32 s60, s69, s88                                   // 000000002EAC: 8F3C5845
	s_mul_i32 s60, s4, s60                                     // 000000002EB0: 923C3C04
	s_add_u32 s20, s60, s20                                    // 000000002EB4: 8014143C
	s_addc_u32 s21, 0, s21                                     // 000000002EB8: 82151580
	s_mul_i32 s60, s7, 16                                      // 000000002EBC: 923C9007
	s_mul_i32 s60, s60, s69                                    // 000000002EC0: 923C453C
	v_lshlrev_b32_e32 v78, 4, v0                               // 000000002EC4: 249C0084
	v_add_u32_e32 v78, s60, v78                                // 000000002EC8: 689C9C3C
	s_mul_i32 s60, 64, s69                                     // 000000002ECC: 923C45C0
	s_mov_b32 s84, s24                                         // 000000002ED0: BED40018
	s_mov_b32 s85, s25                                         // 000000002ED4: BED50019
	s_mov_b32 s86, s26                                         // 000000002ED8: BED6001A
	s_mov_b32 s87, s27                                         // 000000002EDC: BED7001B
	s_mul_i32 s60, s69, s65                                    // 000000002EE0: 923C4145
	s_add_u32 s84, s60, s84                                    // 000000002EE4: 8054543C
	s_addc_u32 s85, 0, s85                                     // 000000002EE8: 82555580
	v_lshrrev_b32_e32 v4, 4, v0                                // 000000002EEC: 20080084
	v_lshlrev_b32_e32 v5, 2, v4                                // 000000002EF0: 240A0882
	v_and_b32_e32 v4, 15, v0                                   // 000000002EF4: 2608008F
	v_lshrrev_b32_e32 v6, 2, v4                                // 000000002EF8: 200C0882
	v_lshlrev_b32_e32 v6, 6, v6                                // 000000002EFC: 240C0C86
	v_add_u32_e32 v5, v6, v5                                   // 000000002F00: 680A0B06
	v_and_b32_e32 v4, 3, v0                                    // 000000002F04: 26080083
	v_add_u32_e32 v5, v4, v5                                   // 000000002F08: 680A0B04
	v_lshlrev_b32_e32 v22, 2, v5                               // 000000002F0C: 242C0A82
	s_mul_i32 s60, s7, 16                                      // 000000002F10: 923C9007
	s_mul_i32 s60, s60, 4                                      // 000000002F14: 923C843C
	v_add_u32_e32 v22, s60, v22                                // 000000002F18: 682C2C3C
	s_mul_i32 s60, s2, 64                                      // 000000002F1C: 923CC002
	s_mul_i32 s60, s60, 4                                      // 000000002F20: 923C843C
	s_mul_i32 s61, s5, s74                                     // 000000002F24: 923D4A05
	s_add_u32 s61, s61, s60                                    // 000000002F28: 803D3C3D
	s_add_u32 s32, s61, s32                                    // 000000002F2C: 8020203D
	s_addc_u32 s33, 0, s33                                     // 000000002F30: 82212180
	s_mov_b32 s57, 0x80                                        // 000000002F34: BEB900FF 00000080
	s_mov_b32 s58, 0x800                                       // 000000002F3C: BEBA00FF 00000800
	s_mov_b32 s83, s58                                         // 000000002F44: BED3003A
	s_mov_b32 s52, 0x7060302                                   // 000000002F48: BEB400FF 07060302
	s_mov_b32 s53, 0x400                                       // 000000002F50: BEB500FF 00000400
	s_mov_b32 s54, 0x40100                                     // 000000002F58: BEB600FF 00040100
	s_mov_b32 s55, 0x4020100                                   // 000000002F60: BEB700FF 04020100
	s_mov_b32 s6, 0x3fb8aa3b                                   // 000000002F68: BE8600FF 3FB8AA3B
	s_mov_b32 s78, 0xbd92220c                                  // 000000002F70: BECE00FF BD92220C
	s_mov_b32 s79, 0xbd92220c                                  // 000000002F78: BECF00FF BD92220C
	s_mov_b32 m0, s48                                          // 000000002F80: BEFC0030
	v_mov_b32_e32 v1, 0xbfcc4231                               // 000000002F84: 7E0202FF BFCC4231
	v_mov_b32_e32 v17, 0xffff0000                              // 000000002F8C: 7E2202FF FFFF0000
	v_mov_b32_e32 v18, 0x7fff0000                              // 000000002F94: 7E2402FF 7FFF0000
	v_mov_b32_e32 v19, 0x7fff                                  // 000000002F9C: 7E2602FF 00007FFF
	s_waitcnt vmcnt(0) expcnt(0) lgkmcnt(0)                    // 000000002FA4: BF8C0000
	v_lshrrev_b32_e32 v4, 5, v0                                // 000000002FA8: 20080085
	v_xor_b32_e32 v5, 1, v4                                    // 000000002FAC: 2A0A0881
	v_readlane_b32 s82, v3, 0                                  // 000000002FB0: D2890052 00010103
	s_and_b32 s82, s82, 0xffffff                               // 000000002FB8: 8652FF52 00FFFFFF
	v_mul_lo_u32 v6, v5, s82                                   // 000000002FC0: D2850006 0000A505
	v_readlane_b32 s82, v3, 1                                  // 000000002FC8: D2890052 00010303
	s_and_b32 s82, s82, 0xffffff                               // 000000002FD0: 8652FF52 00FFFFFF
	v_mul_lo_u32 v7, v4, s82                                   // 000000002FD8: D2850007 0000A504
	v_add_u32_e32 v62, v6, v7                                  // 000000002FE0: 687C0F06
	v_mul_lo_u32 v62, v62, s68                                 // 000000002FE4: D285003E 0000893E
	v_readlane_b32 s82, v3, 2                                  // 000000002FEC: D2890052 00010503
	s_and_b32 s82, s82, 0xffffff                               // 000000002FF4: 8652FF52 00FFFFFF
	v_mul_lo_u32 v6, v5, s82                                   // 000000002FFC: D2850006 0000A505
	v_readlane_b32 s82, v3, 3                                  // 000000003004: D2890052 00010703
	s_and_b32 s82, s82, 0xffffff                               // 00000000300C: 8652FF52 00FFFFFF
	v_mul_lo_u32 v7, v4, s82                                   // 000000003014: D2850007 0000A504
	v_add_u32_e32 v63, v6, v7                                  // 00000000301C: 687E0F06
	v_mul_lo_u32 v63, v63, s68                                 // 000000003020: D285003F 0000893F
	v_readlane_b32 s82, v3, 4                                  // 000000003028: D2890052 00010903
	s_and_b32 s82, s82, 0xffffff                               // 000000003030: 8652FF52 00FFFFFF
	v_mul_lo_u32 v6, v5, s82                                   // 000000003038: D2850006 0000A505
	v_readlane_b32 s82, v3, 5                                  // 000000003040: D2890052 00010B03
	s_and_b32 s82, s82, 0xffffff                               // 000000003048: 8652FF52 00FFFFFF
	v_mul_lo_u32 v7, v4, s82                                   // 000000003050: D2850007 0000A504
	v_add_u32_e32 v64, v6, v7                                  // 000000003058: 68800F06
	v_mul_lo_u32 v64, v64, s68                                 // 00000000305C: D2850040 00008940
	v_readlane_b32 s82, v3, 6                                  // 000000003064: D2890052 00010D03
	s_and_b32 s82, s82, 0xffffff                               // 00000000306C: 8652FF52 00FFFFFF
	v_mul_lo_u32 v6, v5, s82                                   // 000000003074: D2850006 0000A505
	v_readlane_b32 s82, v3, 7                                  // 00000000307C: D2890052 00010F03
	s_and_b32 s82, s82, 0xffffff                               // 000000003084: 8652FF52 00FFFFFF
	v_mul_lo_u32 v7, v4, s82                                   // 00000000308C: D2850007 0000A504
	v_add_u32_e32 v65, v6, v7                                  // 000000003094: 68820F06
	v_mul_lo_u32 v65, v65, s68                                 // 000000003098: D2850041 00008941
	v_readlane_b32 s82, v3, 8                                  // 0000000030A0: D2890052 00011103
	s_and_b32 s82, s82, 0xffffff                               // 0000000030A8: 8652FF52 00FFFFFF
	v_mul_lo_u32 v6, v5, s82                                   // 0000000030B0: D2850006 0000A505
	v_readlane_b32 s82, v3, 9                                  // 0000000030B8: D2890052 00011303
	s_and_b32 s82, s82, 0xffffff                               // 0000000030C0: 8652FF52 00FFFFFF
	v_mul_lo_u32 v7, v4, s82                                   // 0000000030C8: D2850007 0000A504
	v_add_u32_e32 v66, v6, v7                                  // 0000000030D0: 68840F06
	v_mul_lo_u32 v66, v66, s68                                 // 0000000030D4: D2850042 00008942
	v_readlane_b32 s82, v3, 10                                 // 0000000030DC: D2890052 00011503
	s_and_b32 s82, s82, 0xffffff                               // 0000000030E4: 8652FF52 00FFFFFF
	v_mul_lo_u32 v6, v5, s82                                   // 0000000030EC: D2850006 0000A505
	v_readlane_b32 s82, v3, 11                                 // 0000000030F4: D2890052 00011703
	s_and_b32 s82, s82, 0xffffff                               // 0000000030FC: 8652FF52 00FFFFFF
	v_mul_lo_u32 v7, v4, s82                                   // 000000003104: D2850007 0000A504
	v_add_u32_e32 v67, v6, v7                                  // 00000000310C: 68860F06
	v_mul_lo_u32 v67, v67, s68                                 // 000000003110: D2850043 00008943
	v_readlane_b32 s82, v3, 12                                 // 000000003118: D2890052 00011903
	s_and_b32 s82, s82, 0xffffff                               // 000000003120: 8652FF52 00FFFFFF
	v_mul_lo_u32 v6, v5, s82                                   // 000000003128: D2850006 0000A505
	v_readlane_b32 s82, v3, 13                                 // 000000003130: D2890052 00011B03
	s_and_b32 s82, s82, 0xffffff                               // 000000003138: 8652FF52 00FFFFFF
	v_mul_lo_u32 v7, v4, s82                                   // 000000003140: D2850007 0000A504
	v_add_u32_e32 v68, v6, v7                                  // 000000003148: 68880F06
	v_mul_lo_u32 v68, v68, s68                                 // 00000000314C: D2850044 00008944
	v_readlane_b32 s82, v3, 14                                 // 000000003154: D2890052 00011D03
	s_and_b32 s82, s82, 0xffffff                               // 00000000315C: 8652FF52 00FFFFFF
	v_mul_lo_u32 v6, v5, s82                                   // 000000003164: D2850006 0000A505
	v_readlane_b32 s82, v3, 15                                 // 00000000316C: D2890052 00011F03
	s_and_b32 s82, s82, 0xffffff                               // 000000003174: 8652FF52 00FFFFFF
	v_mul_lo_u32 v7, v4, s82                                   // 00000000317C: D2850007 0000A504
	v_add_u32_e32 v69, v6, v7                                  // 000000003184: 688A0F06
	v_mul_lo_u32 v69, v69, s68                                 // 000000003188: D2850045 00008945
	v_readlane_b32 s82, v3, 16                                 // 000000003190: D2890052 00012103
	s_and_b32 s82, s82, 0xffffff                               // 000000003198: 8652FF52 00FFFFFF
	v_mul_lo_u32 v6, v5, s82                                   // 0000000031A0: D2850006 0000A505
	v_readlane_b32 s82, v3, 17                                 // 0000000031A8: D2890052 00012303
	s_and_b32 s82, s82, 0xffffff                               // 0000000031B0: 8652FF52 00FFFFFF
	v_mul_lo_u32 v7, v4, s82                                   // 0000000031B8: D2850007 0000A504
	v_add_u32_e32 v70, v6, v7                                  // 0000000031C0: 688C0F06
	v_mul_lo_u32 v70, v70, s68                                 // 0000000031C4: D2850046 00008946
	v_readlane_b32 s82, v3, 18                                 // 0000000031CC: D2890052 00012503
	s_and_b32 s82, s82, 0xffffff                               // 0000000031D4: 8652FF52 00FFFFFF
	v_mul_lo_u32 v6, v5, s82                                   // 0000000031DC: D2850006 0000A505
	v_readlane_b32 s82, v3, 19                                 // 0000000031E4: D2890052 00012703
	s_and_b32 s82, s82, 0xffffff                               // 0000000031EC: 8652FF52 00FFFFFF
	v_mul_lo_u32 v7, v4, s82                                   // 0000000031F4: D2850007 0000A504
	v_add_u32_e32 v71, v6, v7                                  // 0000000031FC: 688E0F06
	v_mul_lo_u32 v71, v71, s68                                 // 000000003200: D2850047 00008947
	v_readlane_b32 s82, v3, 20                                 // 000000003208: D2890052 00012903
	s_and_b32 s82, s82, 0xffffff                               // 000000003210: 8652FF52 00FFFFFF
	v_mul_lo_u32 v6, v5, s82                                   // 000000003218: D2850006 0000A505
	v_readlane_b32 s82, v3, 21                                 // 000000003220: D2890052 00012B03
	s_and_b32 s82, s82, 0xffffff                               // 000000003228: 8652FF52 00FFFFFF
	v_mul_lo_u32 v7, v4, s82                                   // 000000003230: D2850007 0000A504
	v_add_u32_e32 v72, v6, v7                                  // 000000003238: 68900F06
	v_mul_lo_u32 v72, v72, s68                                 // 00000000323C: D2850048 00008948
	v_readlane_b32 s82, v3, 22                                 // 000000003244: D2890052 00012D03
	s_and_b32 s82, s82, 0xffffff                               // 00000000324C: 8652FF52 00FFFFFF
	v_mul_lo_u32 v6, v5, s82                                   // 000000003254: D2850006 0000A505
	v_readlane_b32 s82, v3, 23                                 // 00000000325C: D2890052 00012F03
	s_and_b32 s82, s82, 0xffffff                               // 000000003264: 8652FF52 00FFFFFF
	v_mul_lo_u32 v7, v4, s82                                   // 00000000326C: D2850007 0000A504
	v_add_u32_e32 v73, v6, v7                                  // 000000003274: 68920F06
	v_mul_lo_u32 v73, v73, s68                                 // 000000003278: D2850049 00008949
	v_readlane_b32 s82, v3, 24                                 // 000000003280: D2890052 00013103
	s_and_b32 s82, s82, 0xffffff                               // 000000003288: 8652FF52 00FFFFFF
	v_mul_lo_u32 v6, v5, s82                                   // 000000003290: D2850006 0000A505
	v_readlane_b32 s82, v3, 25                                 // 000000003298: D2890052 00013303
	s_and_b32 s82, s82, 0xffffff                               // 0000000032A0: 8652FF52 00FFFFFF
	v_mul_lo_u32 v7, v4, s82                                   // 0000000032A8: D2850007 0000A504
	v_add_u32_e32 v74, v6, v7                                  // 0000000032B0: 68940F06
	v_mul_lo_u32 v74, v74, s68                                 // 0000000032B4: D285004A 0000894A
	v_readlane_b32 s82, v3, 26                                 // 0000000032BC: D2890052 00013503
	s_and_b32 s82, s82, 0xffffff                               // 0000000032C4: 8652FF52 00FFFFFF
	v_mul_lo_u32 v6, v5, s82                                   // 0000000032CC: D2850006 0000A505
	v_readlane_b32 s82, v3, 27                                 // 0000000032D4: D2890052 00013703
	s_and_b32 s82, s82, 0xffffff                               // 0000000032DC: 8652FF52 00FFFFFF
	v_mul_lo_u32 v7, v4, s82                                   // 0000000032E4: D2850007 0000A504
	v_add_u32_e32 v75, v6, v7                                  // 0000000032EC: 68960F06
	v_mul_lo_u32 v75, v75, s68                                 // 0000000032F0: D285004B 0000894B
	v_readlane_b32 s82, v3, 28                                 // 0000000032F8: D2890052 00013903
	s_and_b32 s82, s82, 0xffffff                               // 000000003300: 8652FF52 00FFFFFF
	v_mul_lo_u32 v6, v5, s82                                   // 000000003308: D2850006 0000A505
	v_readlane_b32 s82, v3, 29                                 // 000000003310: D2890052 00013B03
	s_and_b32 s82, s82, 0xffffff                               // 000000003318: 8652FF52 00FFFFFF
	v_mul_lo_u32 v7, v4, s82                                   // 000000003320: D2850007 0000A504
	v_add_u32_e32 v76, v6, v7                                  // 000000003328: 68980F06
	v_mul_lo_u32 v76, v76, s68                                 // 00000000332C: D285004C 0000894C
	v_readlane_b32 s82, v3, 30                                 // 000000003334: D2890052 00013D03
	s_and_b32 s82, s82, 0xffffff                               // 00000000333C: 8652FF52 00FFFFFF
	v_mul_lo_u32 v6, v5, s82                                   // 000000003344: D2850006 0000A505
	v_readlane_b32 s82, v3, 31                                 // 00000000334C: D2890052 00013F03
	s_and_b32 s82, s82, 0xffffff                               // 000000003354: 8652FF52 00FFFFFF
	v_mul_lo_u32 v7, v4, s82                                   // 00000000335C: D2850007 0000A504
	v_add_u32_e32 v77, v6, v7                                  // 000000003364: 689A0F06
	v_mul_lo_u32 v77, v77, s68                                 // 000000003368: D285004D 0000894D
	v_and_b32_e32 v4, 31, v0                                   // 000000003370: 2608009F
	v_lshlrev_b32_e32 v4, 2, v4                                // 000000003374: 24080882
	v_add_u32_e32 v62, v62, v4                                 // 000000003378: 687C093E
	v_add_u32_e32 v63, v63, v4                                 // 00000000337C: 687E093F
	v_add_u32_e32 v64, v64, v4                                 // 000000003380: 68800940
	v_add_u32_e32 v65, v65, v4                                 // 000000003384: 68820941
	v_add_u32_e32 v66, v66, v4                                 // 000000003388: 68840942
	v_add_u32_e32 v67, v67, v4                                 // 00000000338C: 68860943
	v_add_u32_e32 v68, v68, v4                                 // 000000003390: 68880944
	v_add_u32_e32 v69, v69, v4                                 // 000000003394: 688A0945
	v_add_u32_e32 v70, v70, v4                                 // 000000003398: 688C0946
	v_add_u32_e32 v71, v71, v4                                 // 00000000339C: 688E0947
	v_add_u32_e32 v72, v72, v4                                 // 0000000033A0: 68900948
	v_add_u32_e32 v73, v73, v4                                 // 0000000033A4: 68920949
	v_add_u32_e32 v74, v74, v4                                 // 0000000033A8: 6894094A
	v_add_u32_e32 v75, v75, v4                                 // 0000000033AC: 6896094B
	v_add_u32_e32 v76, v76, v4                                 // 0000000033B0: 6898094C
	v_add_u32_e32 v77, v77, v4                                 // 0000000033B4: 689A094D
	v_and_b32_e32 v30, 0xffffff, v30                           // 0000000033B8: 263C3CFF 00FFFFFF
	v_lshlrev_b32_e32 v30, 2, v30                              // 0000000033C0: 243C3C82
	v_and_b32_e32 v31, 0xffffff, v31                           // 0000000033C4: 263E3EFF 00FFFFFF
	v_lshlrev_b32_e32 v31, 2, v31                              // 0000000033CC: 243E3E82
	v_and_b32_e32 v32, 0xffffff, v32                           // 0000000033D0: 264040FF 00FFFFFF
	v_lshlrev_b32_e32 v32, 2, v32                              // 0000000033D8: 24404082
	v_and_b32_e32 v33, 0xffffff, v33                           // 0000000033DC: 264242FF 00FFFFFF
	v_lshlrev_b32_e32 v33, 2, v33                              // 0000000033E4: 24424282
	v_and_b32_e32 v34, 0xffffff, v34                           // 0000000033E8: 264444FF 00FFFFFF
	v_lshlrev_b32_e32 v34, 2, v34                              // 0000000033F0: 24444482
	v_and_b32_e32 v35, 0xffffff, v35                           // 0000000033F4: 264646FF 00FFFFFF
	v_lshlrev_b32_e32 v35, 2, v35                              // 0000000033FC: 24464682
	v_and_b32_e32 v36, 0xffffff, v36                           // 000000003400: 264848FF 00FFFFFF
	v_lshlrev_b32_e32 v36, 2, v36                              // 000000003408: 24484882
	v_and_b32_e32 v37, 0xffffff, v37                           // 00000000340C: 264A4AFF 00FFFFFF
	v_lshlrev_b32_e32 v37, 2, v37                              // 000000003414: 244A4A82
	s_lshl_b32 s3, s66, 2                                      // 000000003418: 8E038242
	buffer_load_dword v38, v30, s[28:31], 0 offen              // 00000000341C: E0501000 8007261E
	buffer_load_dword v39, v31, s[28:31], 0 offen              // 000000003424: E0501000 8007271F
	buffer_load_dword v40, v32, s[28:31], 0 offen              // 00000000342C: E0501000 80072820
	buffer_load_dword v41, v33, s[28:31], 0 offen              // 000000003434: E0501000 80072921
	buffer_load_dword v42, v34, s[28:31], 0 offen              // 00000000343C: E0501000 80072A22
	buffer_load_dword v43, v35, s[28:31], 0 offen              // 000000003444: E0501000 80072B23
	buffer_load_dword v44, v36, s[28:31], 0 offen              // 00000000344C: E0501000 80072C24
	buffer_load_dword v45, v37, s[28:31], 0 offen              // 000000003454: E0501000 80072D25
	buffer_load_dword v24, v22, s[32:35], 0 offen              // 00000000345C: E0501000 80081816
	s_mul_i32 s60, 4, s65                                      // 000000003464: 923C4184
	s_add_u32 s32, s60, s32                                    // 000000003468: 8020203C
	s_addc_u32 s33, 0, s33                                     // 00000000346C: 82212180
	buffer_load_dword v27, v22, s[32:35], 0 offen              // 000000003470: E0501000 80081B16
	buffer_load_dword v62, s[20:23], 0 offen lds               // 000000003478: E0511000 8005003E
	s_add_u32 m0, 0x100, s48                                   // 000000003480: 807C30FF 00000100
	buffer_load_dword v63, s[20:23], 0 offen lds               // 000000003488: E0511000 8005003F
	s_add_u32 m0, 0x200, s48                                   // 000000003490: 807C30FF 00000200
	buffer_load_dword v64, s[20:23], 0 offen lds               // 000000003498: E0511000 80050040
	s_add_u32 m0, 0x300, s48                                   // 0000000034A0: 807C30FF 00000300
	buffer_load_dword v65, s[20:23], 0 offen lds               // 0000000034A8: E0511000 80050041
	s_add_u32 m0, 0x400, s48                                   // 0000000034B0: 807C30FF 00000400
	buffer_load_dword v66, s[20:23], 0 offen lds               // 0000000034B8: E0511000 80050042
	s_add_u32 m0, 0x500, s48                                   // 0000000034C0: 807C30FF 00000500
	buffer_load_dword v67, s[20:23], 0 offen lds               // 0000000034C8: E0511000 80050043
	s_add_u32 m0, 0x600, s48                                   // 0000000034D0: 807C30FF 00000600
	buffer_load_dword v68, s[20:23], 0 offen lds               // 0000000034D8: E0511000 80050044
	s_add_u32 m0, 0x700, s48                                   // 0000000034E0: 807C30FF 00000700
	buffer_load_dword v69, s[20:23], 0 offen lds               // 0000000034E8: E0511000 80050045
	s_add_u32 m0, 0x800, s48                                   // 0000000034F0: 807C30FF 00000800
	buffer_load_dword v70, s[20:23], 0 offen lds               // 0000000034F8: E0511000 80050046
	s_add_u32 m0, 0x900, s48                                   // 000000003500: 807C30FF 00000900
	buffer_load_dword v71, s[20:23], 0 offen lds               // 000000003508: E0511000 80050047
	s_add_u32 m0, 0xa00, s48                                   // 000000003510: 807C30FF 00000A00
	buffer_load_dword v72, s[20:23], 0 offen lds               // 000000003518: E0511000 80050048
	s_add_u32 m0, 0xb00, s48                                   // 000000003520: 807C30FF 00000B00
	buffer_load_dword v73, s[20:23], 0 offen lds               // 000000003528: E0511000 80050049
	s_add_u32 m0, 0xc00, s48                                   // 000000003530: 807C30FF 00000C00
	buffer_load_dword v74, s[20:23], 0 offen lds               // 000000003538: E0511000 8005004A
	s_add_u32 m0, 0xd00, s48                                   // 000000003540: 807C30FF 00000D00
	buffer_load_dword v75, s[20:23], 0 offen lds               // 000000003548: E0511000 8005004B
	s_add_u32 m0, 0xe00, s48                                   // 000000003550: 807C30FF 00000E00
	buffer_load_dword v76, s[20:23], 0 offen lds               // 000000003558: E0511000 8005004C
	s_add_u32 m0, 0xf00, s48                                   // 000000003560: 807C30FF 00000F00
	buffer_load_dword v77, s[20:23], 0 offen lds               // 000000003568: E0511000 8005004D
	s_add_u32 m0, 0, s49                                       // 000000003570: 807C3180
	s_add_u32 s20, s57, s20                                    // 000000003574: 80141439
	s_addc_u32 s21, 0, s21                                     // 000000003578: 82151580
	buffer_load_dwordx4 a[128:131], v78, s[24:27], 0 offen     // 00000000357C: E05C1000 8086804E
	buffer_load_dwordx4 a[132:135], v78, s[24:27], 0 offen offset:1024// 000000003584: E05C1400 8086844E
	s_add_u32 s24, s58, s24                                    // 00000000358C: 8018183A
	s_addc_u32 s25, 0, s25                                     // 000000003590: 82191980
	buffer_load_dword v62, s[20:23], 0 offen lds               // 000000003594: E0511000 8005003E
	s_add_u32 m0, 0x100, s49                                   // 00000000359C: 807C31FF 00000100
	buffer_load_dword v63, s[20:23], 0 offen lds               // 0000000035A4: E0511000 8005003F
	s_add_u32 m0, 0x200, s49                                   // 0000000035AC: 807C31FF 00000200
	buffer_load_dword v64, s[20:23], 0 offen lds               // 0000000035B4: E0511000 80050040
	s_add_u32 m0, 0x300, s49                                   // 0000000035BC: 807C31FF 00000300
	buffer_load_dword v65, s[20:23], 0 offen lds               // 0000000035C4: E0511000 80050041
	s_add_u32 m0, 0x400, s49                                   // 0000000035CC: 807C31FF 00000400
	buffer_load_dword v66, s[20:23], 0 offen lds               // 0000000035D4: E0511000 80050042
	s_add_u32 m0, 0x500, s49                                   // 0000000035DC: 807C31FF 00000500
	buffer_load_dword v67, s[20:23], 0 offen lds               // 0000000035E4: E0511000 80050043
	s_add_u32 m0, 0x600, s49                                   // 0000000035EC: 807C31FF 00000600
	buffer_load_dword v68, s[20:23], 0 offen lds               // 0000000035F4: E0511000 80050044
	s_add_u32 m0, 0x700, s49                                   // 0000000035FC: 807C31FF 00000700
	buffer_load_dword v69, s[20:23], 0 offen lds               // 000000003604: E0511000 80050045
	s_add_u32 m0, 0x800, s49                                   // 00000000360C: 807C31FF 00000800
	buffer_load_dword v70, s[20:23], 0 offen lds               // 000000003614: E0511000 80050046
	s_add_u32 m0, 0x900, s49                                   // 00000000361C: 807C31FF 00000900
	buffer_load_dword v71, s[20:23], 0 offen lds               // 000000003624: E0511000 80050047
	s_add_u32 m0, 0xa00, s49                                   // 00000000362C: 807C31FF 00000A00
	buffer_load_dword v72, s[20:23], 0 offen lds               // 000000003634: E0511000 80050048
	s_add_u32 m0, 0xb00, s49                                   // 00000000363C: 807C31FF 00000B00
	buffer_load_dword v73, s[20:23], 0 offen lds               // 000000003644: E0511000 80050049
	s_add_u32 m0, 0xc00, s49                                   // 00000000364C: 807C31FF 00000C00
	buffer_load_dword v74, s[20:23], 0 offen lds               // 000000003654: E0511000 8005004A
	s_add_u32 m0, 0xd00, s49                                   // 00000000365C: 807C31FF 00000D00
	buffer_load_dword v75, s[20:23], 0 offen lds               // 000000003664: E0511000 8005004B
	s_add_u32 m0, 0xe00, s49                                   // 00000000366C: 807C31FF 00000E00
	buffer_load_dword v76, s[20:23], 0 offen lds               // 000000003674: E0511000 8005004C
	s_add_u32 m0, 0xf00, s49                                   // 00000000367C: 807C31FF 00000F00
	buffer_load_dword v77, s[20:23], 0 offen lds               // 000000003684: E0511000 8005004D
	s_add_u32 m0, 0, s50                                       // 00000000368C: 807C3280
	s_add_u32 s20, s57, s20                                    // 000000003690: 80141439
	s_addc_u32 s21, 0, s21                                     // 000000003694: 82151580
	buffer_load_dwordx4 a[136:139], v78, s[84:87], 0 offen     // 000000003698: E05C1000 8095884E
	buffer_load_dwordx4 a[140:143], v78, s[84:87], 0 offen offset:1024// 0000000036A0: E05C1400 80958C4E
	s_add_u32 s84, s83, s84                                    // 0000000036A8: 80545453
	s_addc_u32 s85, 0, s85                                     // 0000000036AC: 82555580
	s_waitcnt vmcnt(20)                                        // 0000000036B0: BF8C4F74
	s_barrier                                                  // 0000000036B4: BF8A0000
	ds_read_b128 a[0:3], v2                                    // 0000000036B8: DBFE0000 00000002
	ds_read_b128 a[4:7], v2 offset:64                          // 0000000036C0: DBFE0040 04000002
	ds_read_b128 a[8:11], v2 offset:512                        // 0000000036C8: DBFE0200 08000002
	ds_read_b128 a[12:15], v2 offset:576                       // 0000000036D0: DBFE0240 0C000002
	ds_read_b128 a[16:19], v2 offset:1024                      // 0000000036D8: DBFE0400 10000002
	ds_read_b128 a[20:23], v2 offset:1088                      // 0000000036E0: DBFE0440 14000002
	ds_read_b128 a[24:27], v2 offset:1536                      // 0000000036E8: DBFE0600 18000002
	ds_read_b128 a[28:31], v2 offset:1600                      // 0000000036F0: DBFE0640 1C000002
	ds_read_b128 a[32:35], v2 offset:2048                      // 0000000036F8: DBFE0800 20000002
	ds_read_b128 a[36:39], v2 offset:2112                      // 000000003700: DBFE0840 24000002
	ds_read_b128 a[40:43], v2 offset:2560                      // 000000003708: DBFE0A00 28000002
	ds_read_b128 a[44:47], v2 offset:2624                      // 000000003710: DBFE0A40 2C000002
	ds_read_b128 a[48:51], v2 offset:3072                      // 000000003718: DBFE0C00 30000002
	ds_read_b128 a[52:55], v2 offset:3136                      // 000000003720: DBFE0C40 34000002
	ds_read_b128 a[56:59], v2 offset:3584                      // 000000003728: DBFE0E00 38000002
	ds_read_b128 a[60:63], v2 offset:3648                      // 000000003730: DBFE0E40 3C000002
	s_cmp_lt_i32 s7, 2                                         // 000000003738: BF048207
	s_cbranch_scc0 label_16DB                                  // 00000000373C: BF841388

0000000000003740 <label_0350>:
	s_waitcnt vmcnt(18) lgkmcnt(0)                             // 000000003740: BF8C4072
	v_mfma_f32_16x16x32_fp8_fp8 v[80:83], a[128:129], a[0:1], v[80:83]// 000000003744: D3F30050 1D420180
	v_mfma_f32_16x16x32_fp8_fp8 v[80:83], a[130:131], a[2:3], v[80:83]// 00000000374C: D3F30050 1D420582
	buffer_load_dwordx4 a[144:147], v78, s[24:27], 0 offen     // 000000003754: E05C1000 8086904E
	v_mfma_f32_16x16x32_fp8_fp8 v[80:83], a[132:133], a[4:5], v[80:83]// 00000000375C: D3F30050 1D420984
	v_mfma_f32_16x16x32_fp8_fp8 v[80:83], a[134:135], a[6:7], v[80:83]// 000000003764: D3F30050 1D420D86
	v_mfma_f32_16x16x32_fp8_fp8 v[84:87], a[128:129], a[8:9], v[84:87]// 00000000376C: D3F30054 1D521180
	v_mfma_f32_16x16x32_fp8_fp8 v[84:87], a[130:131], a[10:11], v[84:87]// 000000003774: D3F30054 1D521582
	buffer_load_dwordx4 a[148:151], v78, s[24:27], 0 offen offset:1024// 00000000377C: E05C1400 8086944E
	buffer_load_dword v62, s[20:23], 0 offen lds               // 000000003784: E0511000 8005003E
	s_add_u32 m0, 0x100, s50                                   // 00000000378C: 807C32FF 00000100
	v_mfma_f32_16x16x32_fp8_fp8 v[84:87], a[132:133], a[12:13], v[84:87]// 000000003794: D3F30054 1D521984
	v_mfma_f32_16x16x32_fp8_fp8 v[84:87], a[134:135], a[14:15], v[84:87]// 00000000379C: D3F30054 1D521D86
	buffer_load_dword v63, s[20:23], 0 offen lds               // 0000000037A4: E0511000 8005003F
	s_add_u32 m0, 0x200, s50                                   // 0000000037AC: 807C32FF 00000200
	v_mfma_f32_16x16x32_fp8_fp8 v[88:91], a[128:129], a[16:17], v[88:91]// 0000000037B4: D3F30058 1D622180
	v_mfma_f32_16x16x32_fp8_fp8 v[88:91], a[130:131], a[18:19], v[88:91]// 0000000037BC: D3F30058 1D622582
	buffer_load_dword v64, s[20:23], 0 offen lds               // 0000000037C4: E0511000 80050040
	s_add_u32 m0, 0x300, s50                                   // 0000000037CC: 807C32FF 00000300
	v_mfma_f32_16x16x32_fp8_fp8 v[88:91], a[132:133], a[20:21], v[88:91]// 0000000037D4: D3F30058 1D622984
	v_mfma_f32_16x16x32_fp8_fp8 v[88:91], a[134:135], a[22:23], v[88:91]// 0000000037DC: D3F30058 1D622D86
	buffer_load_dword v65, s[20:23], 0 offen lds               // 0000000037E4: E0511000 80050041
	s_add_u32 m0, 0x400, s50                                   // 0000000037EC: 807C32FF 00000400
	v_mfma_f32_16x16x32_fp8_fp8 v[92:95], a[128:129], a[24:25], v[92:95]// 0000000037F4: D3F3005C 1D723180
	v_mfma_f32_16x16x32_fp8_fp8 v[92:95], a[130:131], a[26:27], v[92:95]// 0000000037FC: D3F3005C 1D723582
	buffer_load_dword v66, s[20:23], 0 offen lds               // 000000003804: E0511000 80050042
	s_add_u32 m0, 0x500, s50                                   // 00000000380C: 807C32FF 00000500
	v_mfma_f32_16x16x32_fp8_fp8 v[92:95], a[132:133], a[28:29], v[92:95]// 000000003814: D3F3005C 1D723984
	v_mfma_f32_16x16x32_fp8_fp8 v[92:95], a[134:135], a[30:31], v[92:95]// 00000000381C: D3F3005C 1D723D86
	buffer_load_dword v67, s[20:23], 0 offen lds               // 000000003824: E0511000 80050043
	s_add_u32 m0, 0x600, s50                                   // 00000000382C: 807C32FF 00000600
	v_mfma_f32_16x16x32_fp8_fp8 v[96:99], a[128:129], a[32:33], v[96:99]// 000000003834: D3F30060 1D824180
	v_mfma_f32_16x16x32_fp8_fp8 v[96:99], a[130:131], a[34:35], v[96:99]// 00000000383C: D3F30060 1D824582
	v_mfma_f32_16x16x32_fp8_fp8 v[96:99], a[132:133], a[36:37], v[96:99]// 000000003844: D3F30060 1D824984
	v_mfma_f32_16x16x32_fp8_fp8 v[96:99], a[134:135], a[38:39], v[96:99]// 00000000384C: D3F30060 1D824D86
	v_mfma_f32_16x16x32_fp8_fp8 v[100:103], a[128:129], a[40:41], v[100:103]// 000000003854: D3F30064 1D925180
	v_mfma_f32_16x16x32_fp8_fp8 v[100:103], a[130:131], a[42:43], v[100:103]// 00000000385C: D3F30064 1D925582
	buffer_load_dword v68, s[20:23], 0 offen lds               // 000000003864: E0511000 80050044
	s_add_u32 m0, 0x700, s50                                   // 00000000386C: 807C32FF 00000700
	v_mfma_f32_16x16x32_fp8_fp8 v[100:103], a[132:133], a[44:45], v[100:103]// 000000003874: D3F30064 1D925984
	v_mfma_f32_16x16x32_fp8_fp8 v[100:103], a[134:135], a[46:47], v[100:103]// 00000000387C: D3F30064 1D925D86
	buffer_load_dword v69, s[20:23], 0 offen lds               // 000000003884: E0511000 80050045
	s_add_u32 m0, 0x800, s50                                   // 00000000388C: 807C32FF 00000800
	v_mfma_f32_16x16x32_fp8_fp8 v[104:107], a[128:129], a[48:49], v[104:107]// 000000003894: D3F30068 1DA26180
	v_mfma_f32_16x16x32_fp8_fp8 v[104:107], a[130:131], a[50:51], v[104:107]// 00000000389C: D3F30068 1DA26582
	v_mfma_f32_16x16x32_fp8_fp8 v[104:107], a[132:133], a[52:53], v[104:107]// 0000000038A4: D3F30068 1DA26984
	v_mfma_f32_16x16x32_fp8_fp8 v[104:107], a[134:135], a[54:55], v[104:107]// 0000000038AC: D3F30068 1DA26D86
	v_mfma_f32_16x16x32_fp8_fp8 v[108:111], a[128:129], a[56:57], v[108:111]// 0000000038B4: D3F3006C 1DB27180
	v_mfma_f32_16x16x32_fp8_fp8 v[108:111], a[130:131], a[58:59], v[108:111]// 0000000038BC: D3F3006C 1DB27582
	buffer_load_dword v70, s[20:23], 0 offen lds               // 0000000038C4: E0511000 80050046
	s_add_u32 m0, 0x900, s50                                   // 0000000038CC: 807C32FF 00000900
	v_mfma_f32_16x16x32_fp8_fp8 v[108:111], a[132:133], a[60:61], v[108:111]// 0000000038D4: D3F3006C 1DB27984
	v_mfma_f32_16x16x32_fp8_fp8 v[108:111], a[134:135], a[62:63], v[108:111]// 0000000038DC: D3F3006C 1DB27D86
	buffer_load_dword v71, s[20:23], 0 offen lds               // 0000000038E4: E0511000 80050047
	s_add_u32 m0, 0xa00, s50                                   // 0000000038EC: 807C32FF 00000A00
	buffer_load_dword v72, s[20:23], 0 offen lds               // 0000000038F4: E0511000 80050048
	s_add_u32 m0, 0xb00, s50                                   // 0000000038FC: 807C32FF 00000B00
	buffer_load_dword v73, s[20:23], 0 offen lds               // 000000003904: E0511000 80050049
	s_add_u32 m0, 0xc00, s50                                   // 00000000390C: 807C32FF 00000C00
	buffer_load_dword v74, s[20:23], 0 offen lds               // 000000003914: E0511000 8005004A
	s_add_u32 m0, 0xd00, s50                                   // 00000000391C: 807C32FF 00000D00
	buffer_load_dword v75, s[20:23], 0 offen lds               // 000000003924: E0511000 8005004B
	s_add_u32 m0, 0xe00, s50                                   // 00000000392C: 807C32FF 00000E00
	buffer_load_dword v76, s[20:23], 0 offen lds               // 000000003934: E0511000 8005004C
	s_add_u32 m0, 0xf00, s50                                   // 00000000393C: 807C32FF 00000F00
	buffer_load_dword v77, s[20:23], 0 offen lds               // 000000003944: E0511000 8005004D
	s_add_u32 m0, 0, s48                                       // 00000000394C: 807C3080
	s_waitcnt vmcnt(18)                                        // 000000003950: BF8C4F72
	s_barrier                                                  // 000000003954: BF8A0000
	v_mfma_f32_16x16x32_fp8_fp8 v[112:115], a[136:137], a[0:1], v[112:115]// 000000003958: D3F30070 1DC20188
	v_mfma_f32_16x16x32_fp8_fp8 v[112:115], a[138:139], a[2:3], v[112:115]// 000000003960: D3F30070 1DC2058A
	buffer_load_dwordx4 a[128:131], v78, s[84:87], 0 offen     // 000000003968: E05C1000 8095804E
	v_mfma_f32_16x16x32_fp8_fp8 v[112:115], a[140:141], a[4:5], v[112:115]// 000000003970: D3F30070 1DC2098C
	v_mfma_f32_16x16x32_fp8_fp8 v[112:115], a[142:143], a[6:7], v[112:115]// 000000003978: D3F30070 1DC20D8E
	ds_read_b128 a[64:67], v2 offset:16512                     // 000000003980: DBFE4080 40000002
	ds_read_b128 a[68:71], v2 offset:16576                     // 000000003988: DBFE40C0 44000002
	v_mfma_f32_16x16x32_fp8_fp8 v[116:119], a[136:137], a[8:9], v[116:119]// 000000003990: D3F30074 1DD21188
	v_mfma_f32_16x16x32_fp8_fp8 v[116:119], a[138:139], a[10:11], v[116:119]// 000000003998: D3F30074 1DD2158A
	buffer_load_dwordx4 a[132:135], v78, s[84:87], 0 offen offset:1024// 0000000039A0: E05C1400 8095844E
	v_mfma_f32_16x16x32_fp8_fp8 v[116:119], a[140:141], a[12:13], v[116:119]// 0000000039A8: D3F30074 1DD2198C
	v_mfma_f32_16x16x32_fp8_fp8 v[116:119], a[142:143], a[14:15], v[116:119]// 0000000039B0: D3F30074 1DD21D8E
	ds_read_b128 a[72:75], v2 offset:17024                     // 0000000039B8: DBFE4280 48000002
	ds_read_b128 a[76:79], v2 offset:17088                     // 0000000039C0: DBFE42C0 4C000002
	v_mfma_f32_16x16x32_fp8_fp8 v[120:123], a[136:137], a[16:17], v[120:123]// 0000000039C8: D3F30078 1DE22188
	v_mfma_f32_16x16x32_fp8_fp8 v[120:123], a[138:139], a[18:19], v[120:123]// 0000000039D0: D3F30078 1DE2258A
	v_mfma_f32_16x16x32_fp8_fp8 v[120:123], a[140:141], a[20:21], v[120:123]// 0000000039D8: D3F30078 1DE2298C
	v_mfma_f32_16x16x32_fp8_fp8 v[120:123], a[142:143], a[22:23], v[120:123]// 0000000039E0: D3F30078 1DE22D8E
	ds_read_b128 a[80:83], v2 offset:17536                     // 0000000039E8: DBFE4480 50000002
	ds_read_b128 a[84:87], v2 offset:17600                     // 0000000039F0: DBFE44C0 54000002
	v_mfma_f32_16x16x32_fp8_fp8 v[124:127], a[136:137], a[24:25], v[124:127]// 0000000039F8: D3F3007C 1DF23188
	v_mfma_f32_16x16x32_fp8_fp8 v[124:127], a[138:139], a[26:27], v[124:127]// 000000003A00: D3F3007C 1DF2358A
	v_mfma_f32_16x16x32_fp8_fp8 v[124:127], a[140:141], a[28:29], v[124:127]// 000000003A08: D3F3007C 1DF2398C
	v_mfma_f32_16x16x32_fp8_fp8 v[124:127], a[142:143], a[30:31], v[124:127]// 000000003A10: D3F3007C 1DF23D8E
	ds_read_b128 a[88:91], v2 offset:18048                     // 000000003A18: DBFE4680 58000002
	ds_read_b128 a[92:95], v2 offset:18112                     // 000000003A20: DBFE46C0 5C000002
	v_mfma_f32_16x16x32_fp8_fp8 v[128:131], a[136:137], a[32:33], v[128:131]// 000000003A28: D3F30080 1E024188
	v_mfma_f32_16x16x32_fp8_fp8 v[128:131], a[138:139], a[34:35], v[128:131]// 000000003A30: D3F30080 1E02458A
	v_mfma_f32_16x16x32_fp8_fp8 v[128:131], a[140:141], a[36:37], v[128:131]// 000000003A38: D3F30080 1E02498C
	v_mfma_f32_16x16x32_fp8_fp8 v[128:131], a[142:143], a[38:39], v[128:131]// 000000003A40: D3F30080 1E024D8E
	ds_read_b128 a[96:99], v2 offset:18560                     // 000000003A48: DBFE4880 60000002
	ds_read_b128 a[100:103], v2 offset:18624                   // 000000003A50: DBFE48C0 64000002
	v_mfma_f32_16x16x32_fp8_fp8 v[132:135], a[136:137], a[40:41], v[132:135]// 000000003A58: D3F30084 1E125188
	v_mfma_f32_16x16x32_fp8_fp8 v[132:135], a[138:139], a[42:43], v[132:135]// 000000003A60: D3F30084 1E12558A
	v_mfma_f32_16x16x32_fp8_fp8 v[132:135], a[140:141], a[44:45], v[132:135]// 000000003A68: D3F30084 1E12598C
	v_mfma_f32_16x16x32_fp8_fp8 v[132:135], a[142:143], a[46:47], v[132:135]// 000000003A70: D3F30084 1E125D8E
	ds_read_b128 a[104:107], v2 offset:19072                   // 000000003A78: DBFE4A80 68000002
	ds_read_b128 a[108:111], v2 offset:19136                   // 000000003A80: DBFE4AC0 6C000002
	v_mfma_f32_16x16x32_fp8_fp8 v[136:139], a[136:137], a[48:49], v[136:139]// 000000003A88: D3F30088 1E226188
	s_add_u32 s60, 0x180, s80                                  // 000000003A90: 803C50FF 00000180
	s_cmp_lt_u32 s60, s81                                      // 000000003A98: BF0A513C
	s_cselect_b32 s57, s57, 0                                  // 000000003A9C: 85398039
	v_mfma_f32_16x16x32_fp8_fp8 v[136:139], a[138:139], a[50:51], v[136:139]// 000000003AA0: D3F30088 1E22658A
	s_add_u32 s60, 0x100, s80                                  // 000000003AA8: 803C50FF 00000100
	s_cmp_lt_u32 s60, s81                                      // 000000003AB0: BF0A513C
	s_cselect_b32 s58, s58, 0                                  // 000000003AB4: 853A803A
	v_mfma_f32_16x16x32_fp8_fp8 v[136:139], a[140:141], a[52:53], v[136:139]// 000000003AB8: D3F30088 1E22698C
	s_add_u32 s60, 0x100, s80                                  // 000000003AC0: 803C50FF 00000100
	s_cmp_lt_u32 s60, s81                                      // 000000003AC8: BF0A513C
	s_cselect_b32 s83, s83, 0                                  // 000000003ACC: 85538053
	v_mfma_f32_16x16x32_fp8_fp8 v[136:139], a[142:143], a[54:55], v[136:139]// 000000003AD0: D3F30088 1E226D8E
	ds_read_b128 a[112:115], v2 offset:19584                   // 000000003AD8: DBFE4C80 70000002
	ds_read_b128 a[116:119], v2 offset:19648                   // 000000003AE0: DBFE4CC0 74000002
	s_add_u32 s24, s58, s24                                    // 000000003AE8: 8018183A
	s_addc_u32 s25, 0, s25                                     // 000000003AEC: 82191980
	v_mfma_f32_16x16x32_fp8_fp8 v[140:143], a[136:137], a[56:57], v[140:143]// 000000003AF0: D3F3008C 1E327188
	s_add_u32 s20, s57, s20                                    // 000000003AF8: 80141439
	s_addc_u32 s21, 0, s21                                     // 000000003AFC: 82151580
	v_mfma_f32_16x16x32_fp8_fp8 v[140:143], a[138:139], a[58:59], v[140:143]// 000000003B00: D3F3008C 1E32758A
	s_add_u32 s84, s83, s84                                    // 000000003B08: 80545453
	s_addc_u32 s85, 0, s85                                     // 000000003B0C: 82555580
	v_mfma_f32_16x16x32_fp8_fp8 v[140:143], a[140:141], a[60:61], v[140:143]// 000000003B10: D3F3008C 1E32798C
	v_mfma_f32_16x16x32_fp8_fp8 v[140:143], a[142:143], a[62:63], v[140:143]// 000000003B18: D3F3008C 1E327D8E
	ds_read_b128 a[120:123], v2 offset:20096                   // 000000003B20: DBFE4E80 78000002
	ds_read_b128 a[124:127], v2 offset:20160                   // 000000003B28: DBFE4EC0 7C000002
	s_addk_i32 s80, 0x80                                       // 000000003B30: B7500080
	s_cmp_lt_i32 s80, s81                                      // 000000003B34: BF045150
	s_cbranch_scc0 label_094B                                  // 000000003B38: BF8404FC
	s_waitcnt vmcnt(18) lgkmcnt(0)                             // 000000003B3C: BF8C4072
	v_mfma_f32_16x16x32_fp8_fp8 v[80:83], a[144:145], a[64:65], v[80:83]// 000000003B40: D3F30050 1D428190
	v_mfma_f32_16x16x32_fp8_fp8 v[80:83], a[146:147], a[66:67], v[80:83]// 000000003B48: D3F30050 1D428592
	buffer_load_dwordx4 a[136:139], v78, s[24:27], 0 offen     // 000000003B50: E05C1000 8086884E
	v_mfma_f32_16x16x32_fp8_fp8 v[80:83], a[148:149], a[68:69], v[80:83]// 000000003B58: D3F30050 1D428994
	v_mfma_f32_16x16x32_fp8_fp8 v[80:83], a[150:151], a[70:71], v[80:83]// 000000003B60: D3F30050 1D428D96
	v_mfma_f32_16x16x32_fp8_fp8 v[84:87], a[144:145], a[72:73], v[84:87]// 000000003B68: D3F30054 1D529190
	v_mfma_f32_16x16x32_fp8_fp8 v[84:87], a[146:147], a[74:75], v[84:87]// 000000003B70: D3F30054 1D529592
	buffer_load_dwordx4 a[140:143], v78, s[24:27], 0 offen offset:1024// 000000003B78: E05C1400 80868C4E
	buffer_load_dword v62, s[20:23], 0 offen lds               // 000000003B80: E0511000 8005003E
	s_add_u32 m0, 0x100, s48                                   // 000000003B88: 807C30FF 00000100
	v_mfma_f32_16x16x32_fp8_fp8 v[84:87], a[148:149], a[76:77], v[84:87]// 000000003B90: D3F30054 1D529994
	v_mfma_f32_16x16x32_fp8_fp8 v[84:87], a[150:151], a[78:79], v[84:87]// 000000003B98: D3F30054 1D529D96
	buffer_load_dword v63, s[20:23], 0 offen lds               // 000000003BA0: E0511000 8005003F
	s_add_u32 m0, 0x200, s48                                   // 000000003BA8: 807C30FF 00000200
	v_mfma_f32_16x16x32_fp8_fp8 v[88:91], a[144:145], a[80:81], v[88:91]// 000000003BB0: D3F30058 1D62A190
	v_mfma_f32_16x16x32_fp8_fp8 v[88:91], a[146:147], a[82:83], v[88:91]// 000000003BB8: D3F30058 1D62A592
	buffer_load_dword v64, s[20:23], 0 offen lds               // 000000003BC0: E0511000 80050040
	s_add_u32 m0, 0x300, s48                                   // 000000003BC8: 807C30FF 00000300
	v_mfma_f32_16x16x32_fp8_fp8 v[88:91], a[148:149], a[84:85], v[88:91]// 000000003BD0: D3F30058 1D62A994
	v_mfma_f32_16x16x32_fp8_fp8 v[88:91], a[150:151], a[86:87], v[88:91]// 000000003BD8: D3F30058 1D62AD96
	buffer_load_dword v65, s[20:23], 0 offen lds               // 000000003BE0: E0511000 80050041
	s_add_u32 m0, 0x400, s48                                   // 000000003BE8: 807C30FF 00000400
	v_mfma_f32_16x16x32_fp8_fp8 v[92:95], a[144:145], a[88:89], v[92:95]// 000000003BF0: D3F3005C 1D72B190
	v_mfma_f32_16x16x32_fp8_fp8 v[92:95], a[146:147], a[90:91], v[92:95]// 000000003BF8: D3F3005C 1D72B592
	buffer_load_dword v66, s[20:23], 0 offen lds               // 000000003C00: E0511000 80050042
	s_add_u32 m0, 0x500, s48                                   // 000000003C08: 807C30FF 00000500
	v_mfma_f32_16x16x32_fp8_fp8 v[92:95], a[148:149], a[92:93], v[92:95]// 000000003C10: D3F3005C 1D72B994
	v_mfma_f32_16x16x32_fp8_fp8 v[92:95], a[150:151], a[94:95], v[92:95]// 000000003C18: D3F3005C 1D72BD96
	buffer_load_dword v67, s[20:23], 0 offen lds               // 000000003C20: E0511000 80050043
	s_add_u32 m0, 0x600, s48                                   // 000000003C28: 807C30FF 00000600
	v_mfma_f32_16x16x32_fp8_fp8 v[96:99], a[144:145], a[96:97], v[96:99]// 000000003C30: D3F30060 1D82C190
	v_mfma_f32_16x16x32_fp8_fp8 v[96:99], a[146:147], a[98:99], v[96:99]// 000000003C38: D3F30060 1D82C592
	v_mfma_f32_16x16x32_fp8_fp8 v[96:99], a[148:149], a[100:101], v[96:99]// 000000003C40: D3F30060 1D82C994
	v_mfma_f32_16x16x32_fp8_fp8 v[96:99], a[150:151], a[102:103], v[96:99]// 000000003C48: D3F30060 1D82CD96
	v_mfma_f32_16x16x32_fp8_fp8 v[100:103], a[144:145], a[104:105], v[100:103]// 000000003C50: D3F30064 1D92D190
	v_mfma_f32_16x16x32_fp8_fp8 v[100:103], a[146:147], a[106:107], v[100:103]// 000000003C58: D3F30064 1D92D592
	buffer_load_dword v68, s[20:23], 0 offen lds               // 000000003C60: E0511000 80050044
	s_add_u32 m0, 0x700, s48                                   // 000000003C68: 807C30FF 00000700
	v_mfma_f32_16x16x32_fp8_fp8 v[100:103], a[148:149], a[108:109], v[100:103]// 000000003C70: D3F30064 1D92D994
	v_mfma_f32_16x16x32_fp8_fp8 v[100:103], a[150:151], a[110:111], v[100:103]// 000000003C78: D3F30064 1D92DD96
	buffer_load_dword v69, s[20:23], 0 offen lds               // 000000003C80: E0511000 80050045
	s_add_u32 m0, 0x800, s48                                   // 000000003C88: 807C30FF 00000800
	v_mfma_f32_16x16x32_fp8_fp8 v[104:107], a[144:145], a[112:113], v[104:107]// 000000003C90: D3F30068 1DA2E190
	v_mfma_f32_16x16x32_fp8_fp8 v[104:107], a[146:147], a[114:115], v[104:107]// 000000003C98: D3F30068 1DA2E592
	v_mfma_f32_16x16x32_fp8_fp8 v[104:107], a[148:149], a[116:117], v[104:107]// 000000003CA0: D3F30068 1DA2E994
	v_mfma_f32_16x16x32_fp8_fp8 v[104:107], a[150:151], a[118:119], v[104:107]// 000000003CA8: D3F30068 1DA2ED96
	v_mfma_f32_16x16x32_fp8_fp8 v[108:111], a[144:145], a[120:121], v[108:111]// 000000003CB0: D3F3006C 1DB2F190
	v_mfma_f32_16x16x32_fp8_fp8 v[108:111], a[146:147], a[122:123], v[108:111]// 000000003CB8: D3F3006C 1DB2F592
	buffer_load_dword v70, s[20:23], 0 offen lds               // 000000003CC0: E0511000 80050046
	s_add_u32 m0, 0x900, s48                                   // 000000003CC8: 807C30FF 00000900
	v_mfma_f32_16x16x32_fp8_fp8 v[108:111], a[148:149], a[124:125], v[108:111]// 000000003CD0: D3F3006C 1DB2F994
	v_mfma_f32_16x16x32_fp8_fp8 v[108:111], a[150:151], a[126:127], v[108:111]// 000000003CD8: D3F3006C 1DB2FD96
	buffer_load_dword v71, s[20:23], 0 offen lds               // 000000003CE0: E0511000 80050047
	s_add_u32 m0, 0xa00, s48                                   // 000000003CE8: 807C30FF 00000A00
	buffer_load_dword v72, s[20:23], 0 offen lds               // 000000003CF0: E0511000 80050048
	s_add_u32 m0, 0xb00, s48                                   // 000000003CF8: 807C30FF 00000B00
	buffer_load_dword v73, s[20:23], 0 offen lds               // 000000003D00: E0511000 80050049
	s_add_u32 m0, 0xc00, s48                                   // 000000003D08: 807C30FF 00000C00
	buffer_load_dword v74, s[20:23], 0 offen lds               // 000000003D10: E0511000 8005004A
	s_add_u32 m0, 0xd00, s48                                   // 000000003D18: 807C30FF 00000D00
	buffer_load_dword v75, s[20:23], 0 offen lds               // 000000003D20: E0511000 8005004B
	s_add_u32 m0, 0xe00, s48                                   // 000000003D28: 807C30FF 00000E00
	buffer_load_dword v76, s[20:23], 0 offen lds               // 000000003D30: E0511000 8005004C
	s_add_u32 m0, 0xf00, s48                                   // 000000003D38: 807C30FF 00000F00
	buffer_load_dword v77, s[20:23], 0 offen lds               // 000000003D40: E0511000 8005004D
	s_add_u32 m0, 0, s49                                       // 000000003D48: 807C3180
	s_waitcnt vmcnt(18)                                        // 000000003D4C: BF8C4F72
	s_barrier                                                  // 000000003D50: BF8A0000
	v_mfma_f32_16x16x32_fp8_fp8 v[112:115], a[128:129], a[64:65], v[112:115]// 000000003D54: D3F30070 1DC28180
	v_mfma_f32_16x16x32_fp8_fp8 v[112:115], a[130:131], a[66:67], v[112:115]// 000000003D5C: D3F30070 1DC28582
	buffer_load_dwordx4 a[144:147], v78, s[84:87], 0 offen     // 000000003D64: E05C1000 8095904E
	v_mfma_f32_16x16x32_fp8_fp8 v[112:115], a[132:133], a[68:69], v[112:115]// 000000003D6C: D3F30070 1DC28984
	v_mfma_f32_16x16x32_fp8_fp8 v[112:115], a[134:135], a[70:71], v[112:115]// 000000003D74: D3F30070 1DC28D86
	ds_read_b128 a[0:3], v2 offset:33024                       // 000000003D7C: DBFE8100 00000002
	ds_read_b128 a[4:7], v2 offset:33088                       // 000000003D84: DBFE8140 04000002
	v_mfma_f32_16x16x32_fp8_fp8 v[116:119], a[128:129], a[72:73], v[116:119]// 000000003D8C: D3F30074 1DD29180
	v_mfma_f32_16x16x32_fp8_fp8 v[116:119], a[130:131], a[74:75], v[116:119]// 000000003D94: D3F30074 1DD29582
	buffer_load_dwordx4 a[148:151], v78, s[84:87], 0 offen offset:1024// 000000003D9C: E05C1400 8095944E
	v_mfma_f32_16x16x32_fp8_fp8 v[116:119], a[132:133], a[76:77], v[116:119]// 000000003DA4: D3F30074 1DD29984
	v_mfma_f32_16x16x32_fp8_fp8 v[116:119], a[134:135], a[78:79], v[116:119]// 000000003DAC: D3F30074 1DD29D86
	ds_read_b128 a[8:11], v2 offset:33536                      // 000000003DB4: DBFE8300 08000002
	ds_read_b128 a[12:15], v2 offset:33600                     // 000000003DBC: DBFE8340 0C000002
	v_mfma_f32_16x16x32_fp8_fp8 v[120:123], a[128:129], a[80:81], v[120:123]// 000000003DC4: D3F30078 1DE2A180
	v_mfma_f32_16x16x32_fp8_fp8 v[120:123], a[130:131], a[82:83], v[120:123]// 000000003DCC: D3F30078 1DE2A582
	v_mfma_f32_16x16x32_fp8_fp8 v[120:123], a[132:133], a[84:85], v[120:123]// 000000003DD4: D3F30078 1DE2A984
	v_mfma_f32_16x16x32_fp8_fp8 v[120:123], a[134:135], a[86:87], v[120:123]// 000000003DDC: D3F30078 1DE2AD86
	ds_read_b128 a[16:19], v2 offset:34048                     // 000000003DE4: DBFE8500 10000002
	ds_read_b128 a[20:23], v2 offset:34112                     // 000000003DEC: DBFE8540 14000002
	v_mfma_f32_16x16x32_fp8_fp8 v[124:127], a[128:129], a[88:89], v[124:127]// 000000003DF4: D3F3007C 1DF2B180
	v_mfma_f32_16x16x32_fp8_fp8 v[124:127], a[130:131], a[90:91], v[124:127]// 000000003DFC: D3F3007C 1DF2B582
	v_mfma_f32_16x16x32_fp8_fp8 v[124:127], a[132:133], a[92:93], v[124:127]// 000000003E04: D3F3007C 1DF2B984
	v_mfma_f32_16x16x32_fp8_fp8 v[124:127], a[134:135], a[94:95], v[124:127]// 000000003E0C: D3F3007C 1DF2BD86
	ds_read_b128 a[24:27], v2 offset:34560                     // 000000003E14: DBFE8700 18000002
	ds_read_b128 a[28:31], v2 offset:34624                     // 000000003E1C: DBFE8740 1C000002
	v_mfma_f32_16x16x32_fp8_fp8 v[128:131], a[128:129], a[96:97], v[128:131]// 000000003E24: D3F30080 1E02C180
	v_mfma_f32_16x16x32_fp8_fp8 v[128:131], a[130:131], a[98:99], v[128:131]// 000000003E2C: D3F30080 1E02C582
	v_mfma_f32_16x16x32_fp8_fp8 v[128:131], a[132:133], a[100:101], v[128:131]// 000000003E34: D3F30080 1E02C984
	v_mfma_f32_16x16x32_fp8_fp8 v[128:131], a[134:135], a[102:103], v[128:131]// 000000003E3C: D3F30080 1E02CD86
	ds_read_b128 a[32:35], v2 offset:35072                     // 000000003E44: DBFE8900 20000002
	ds_read_b128 a[36:39], v2 offset:35136                     // 000000003E4C: DBFE8940 24000002
	v_mfma_f32_16x16x32_fp8_fp8 v[132:135], a[128:129], a[104:105], v[132:135]// 000000003E54: D3F30084 1E12D180
	v_mfma_f32_16x16x32_fp8_fp8 v[132:135], a[130:131], a[106:107], v[132:135]// 000000003E5C: D3F30084 1E12D582
	v_mfma_f32_16x16x32_fp8_fp8 v[132:135], a[132:133], a[108:109], v[132:135]// 000000003E64: D3F30084 1E12D984
	v_mfma_f32_16x16x32_fp8_fp8 v[132:135], a[134:135], a[110:111], v[132:135]// 000000003E6C: D3F30084 1E12DD86
	ds_read_b128 a[40:43], v2 offset:35584                     // 000000003E74: DBFE8B00 28000002
	ds_read_b128 a[44:47], v2 offset:35648                     // 000000003E7C: DBFE8B40 2C000002
	v_mfma_f32_16x16x32_fp8_fp8 v[136:139], a[128:129], a[112:113], v[136:139]// 000000003E84: D3F30088 1E22E180
	s_add_u32 s60, 0x180, s80                                  // 000000003E8C: 803C50FF 00000180
	s_cmp_lt_u32 s60, s81                                      // 000000003E94: BF0A513C
	s_cselect_b32 s57, s57, 0                                  // 000000003E98: 85398039
	v_mfma_f32_16x16x32_fp8_fp8 v[136:139], a[130:131], a[114:115], v[136:139]// 000000003E9C: D3F30088 1E22E582
	s_add_u32 s60, 0x100, s80                                  // 000000003EA4: 803C50FF 00000100
	s_cmp_lt_u32 s60, s81                                      // 000000003EAC: BF0A513C
	s_cselect_b32 s58, s58, 0                                  // 000000003EB0: 853A803A
	v_mfma_f32_16x16x32_fp8_fp8 v[136:139], a[132:133], a[116:117], v[136:139]// 000000003EB4: D3F30088 1E22E984
	s_add_u32 s60, 0x100, s80                                  // 000000003EBC: 803C50FF 00000100
	s_cmp_lt_u32 s60, s81                                      // 000000003EC4: BF0A513C
	s_cselect_b32 s83, s83, 0                                  // 000000003EC8: 85538053
	v_mfma_f32_16x16x32_fp8_fp8 v[136:139], a[134:135], a[118:119], v[136:139]// 000000003ECC: D3F30088 1E22ED86
	ds_read_b128 a[48:51], v2 offset:36096                     // 000000003ED4: DBFE8D00 30000002
	ds_read_b128 a[52:55], v2 offset:36160                     // 000000003EDC: DBFE8D40 34000002
	s_add_u32 s24, s58, s24                                    // 000000003EE4: 8018183A
	s_addc_u32 s25, 0, s25                                     // 000000003EE8: 82191980
	v_mfma_f32_16x16x32_fp8_fp8 v[140:143], a[128:129], a[120:121], v[140:143]// 000000003EEC: D3F3008C 1E32F180
	s_add_u32 s20, s57, s20                                    // 000000003EF4: 80141439
	s_addc_u32 s21, 0, s21                                     // 000000003EF8: 82151580
	v_mfma_f32_16x16x32_fp8_fp8 v[140:143], a[130:131], a[122:123], v[140:143]// 000000003EFC: D3F3008C 1E32F582
	s_add_u32 s84, s83, s84                                    // 000000003F04: 80545453
	s_addc_u32 s85, 0, s85                                     // 000000003F08: 82555580
	v_mfma_f32_16x16x32_fp8_fp8 v[140:143], a[132:133], a[124:125], v[140:143]// 000000003F0C: D3F3008C 1E32F984
	v_mfma_f32_16x16x32_fp8_fp8 v[140:143], a[134:135], a[126:127], v[140:143]// 000000003F14: D3F3008C 1E32FD86
	ds_read_b128 a[56:59], v2 offset:36608                     // 000000003F1C: DBFE8F00 38000002
	ds_read_b128 a[60:63], v2 offset:36672                     // 000000003F24: DBFE8F40 3C000002
	s_addk_i32 s80, 0x80                                       // 000000003F2C: B7500080
	s_cmp_lt_i32 s80, s81                                      // 000000003F30: BF045150
	s_cbranch_scc0 label_094B                                  // 000000003F34: BF8403FD
	s_waitcnt vmcnt(18) lgkmcnt(0)                             // 000000003F38: BF8C4072
	v_mfma_f32_16x16x32_fp8_fp8 v[80:83], a[136:137], a[0:1], v[80:83]// 000000003F3C: D3F30050 1D420188
	v_mfma_f32_16x16x32_fp8_fp8 v[80:83], a[138:139], a[2:3], v[80:83]// 000000003F44: D3F30050 1D42058A
	buffer_load_dwordx4 a[128:131], v78, s[24:27], 0 offen     // 000000003F4C: E05C1000 8086804E
	v_mfma_f32_16x16x32_fp8_fp8 v[80:83], a[140:141], a[4:5], v[80:83]// 000000003F54: D3F30050 1D42098C
	v_mfma_f32_16x16x32_fp8_fp8 v[80:83], a[142:143], a[6:7], v[80:83]// 000000003F5C: D3F30050 1D420D8E
	v_mfma_f32_16x16x32_fp8_fp8 v[84:87], a[136:137], a[8:9], v[84:87]// 000000003F64: D3F30054 1D521188
	v_mfma_f32_16x16x32_fp8_fp8 v[84:87], a[138:139], a[10:11], v[84:87]// 000000003F6C: D3F30054 1D52158A
	buffer_load_dwordx4 a[132:135], v78, s[24:27], 0 offen offset:1024// 000000003F74: E05C1400 8086844E
	buffer_load_dword v62, s[20:23], 0 offen lds               // 000000003F7C: E0511000 8005003E
	s_add_u32 m0, 0x100, s49                                   // 000000003F84: 807C31FF 00000100
	v_mfma_f32_16x16x32_fp8_fp8 v[84:87], a[140:141], a[12:13], v[84:87]// 000000003F8C: D3F30054 1D52198C
	v_mfma_f32_16x16x32_fp8_fp8 v[84:87], a[142:143], a[14:15], v[84:87]// 000000003F94: D3F30054 1D521D8E
	buffer_load_dword v63, s[20:23], 0 offen lds               // 000000003F9C: E0511000 8005003F
	s_add_u32 m0, 0x200, s49                                   // 000000003FA4: 807C31FF 00000200
	v_mfma_f32_16x16x32_fp8_fp8 v[88:91], a[136:137], a[16:17], v[88:91]// 000000003FAC: D3F30058 1D622188
	v_mfma_f32_16x16x32_fp8_fp8 v[88:91], a[138:139], a[18:19], v[88:91]// 000000003FB4: D3F30058 1D62258A
	buffer_load_dword v64, s[20:23], 0 offen lds               // 000000003FBC: E0511000 80050040
	s_add_u32 m0, 0x300, s49                                   // 000000003FC4: 807C31FF 00000300
	v_mfma_f32_16x16x32_fp8_fp8 v[88:91], a[140:141], a[20:21], v[88:91]// 000000003FCC: D3F30058 1D62298C
	v_mfma_f32_16x16x32_fp8_fp8 v[88:91], a[142:143], a[22:23], v[88:91]// 000000003FD4: D3F30058 1D622D8E
	buffer_load_dword v65, s[20:23], 0 offen lds               // 000000003FDC: E0511000 80050041
	s_add_u32 m0, 0x400, s49                                   // 000000003FE4: 807C31FF 00000400
	v_mfma_f32_16x16x32_fp8_fp8 v[92:95], a[136:137], a[24:25], v[92:95]// 000000003FEC: D3F3005C 1D723188
	v_mfma_f32_16x16x32_fp8_fp8 v[92:95], a[138:139], a[26:27], v[92:95]// 000000003FF4: D3F3005C 1D72358A
	buffer_load_dword v66, s[20:23], 0 offen lds               // 000000003FFC: E0511000 80050042
	s_add_u32 m0, 0x500, s49                                   // 000000004004: 807C31FF 00000500
	v_mfma_f32_16x16x32_fp8_fp8 v[92:95], a[140:141], a[28:29], v[92:95]// 00000000400C: D3F3005C 1D72398C
	v_mfma_f32_16x16x32_fp8_fp8 v[92:95], a[142:143], a[30:31], v[92:95]// 000000004014: D3F3005C 1D723D8E
	buffer_load_dword v67, s[20:23], 0 offen lds               // 00000000401C: E0511000 80050043
	s_add_u32 m0, 0x600, s49                                   // 000000004024: 807C31FF 00000600
	v_mfma_f32_16x16x32_fp8_fp8 v[96:99], a[136:137], a[32:33], v[96:99]// 00000000402C: D3F30060 1D824188
	v_mfma_f32_16x16x32_fp8_fp8 v[96:99], a[138:139], a[34:35], v[96:99]// 000000004034: D3F30060 1D82458A
	v_mfma_f32_16x16x32_fp8_fp8 v[96:99], a[140:141], a[36:37], v[96:99]// 00000000403C: D3F30060 1D82498C
	v_mfma_f32_16x16x32_fp8_fp8 v[96:99], a[142:143], a[38:39], v[96:99]// 000000004044: D3F30060 1D824D8E
	v_mfma_f32_16x16x32_fp8_fp8 v[100:103], a[136:137], a[40:41], v[100:103]// 00000000404C: D3F30064 1D925188
	v_mfma_f32_16x16x32_fp8_fp8 v[100:103], a[138:139], a[42:43], v[100:103]// 000000004054: D3F30064 1D92558A
	buffer_load_dword v68, s[20:23], 0 offen lds               // 00000000405C: E0511000 80050044
	s_add_u32 m0, 0x700, s49                                   // 000000004064: 807C31FF 00000700
	v_mfma_f32_16x16x32_fp8_fp8 v[100:103], a[140:141], a[44:45], v[100:103]// 00000000406C: D3F30064 1D92598C
	v_mfma_f32_16x16x32_fp8_fp8 v[100:103], a[142:143], a[46:47], v[100:103]// 000000004074: D3F30064 1D925D8E
	buffer_load_dword v69, s[20:23], 0 offen lds               // 00000000407C: E0511000 80050045
	s_add_u32 m0, 0x800, s49                                   // 000000004084: 807C31FF 00000800
	v_mfma_f32_16x16x32_fp8_fp8 v[104:107], a[136:137], a[48:49], v[104:107]// 00000000408C: D3F30068 1DA26188
	v_mfma_f32_16x16x32_fp8_fp8 v[104:107], a[138:139], a[50:51], v[104:107]// 000000004094: D3F30068 1DA2658A
	v_mfma_f32_16x16x32_fp8_fp8 v[104:107], a[140:141], a[52:53], v[104:107]// 00000000409C: D3F30068 1DA2698C
	v_mfma_f32_16x16x32_fp8_fp8 v[104:107], a[142:143], a[54:55], v[104:107]// 0000000040A4: D3F30068 1DA26D8E
	v_mfma_f32_16x16x32_fp8_fp8 v[108:111], a[136:137], a[56:57], v[108:111]// 0000000040AC: D3F3006C 1DB27188
	v_mfma_f32_16x16x32_fp8_fp8 v[108:111], a[138:139], a[58:59], v[108:111]// 0000000040B4: D3F3006C 1DB2758A
	buffer_load_dword v70, s[20:23], 0 offen lds               // 0000000040BC: E0511000 80050046
	s_add_u32 m0, 0x900, s49                                   // 0000000040C4: 807C31FF 00000900
	v_mfma_f32_16x16x32_fp8_fp8 v[108:111], a[140:141], a[60:61], v[108:111]// 0000000040CC: D3F3006C 1DB2798C
	v_mfma_f32_16x16x32_fp8_fp8 v[108:111], a[142:143], a[62:63], v[108:111]// 0000000040D4: D3F3006C 1DB27D8E
	buffer_load_dword v71, s[20:23], 0 offen lds               // 0000000040DC: E0511000 80050047
	s_add_u32 m0, 0xa00, s49                                   // 0000000040E4: 807C31FF 00000A00
	buffer_load_dword v72, s[20:23], 0 offen lds               // 0000000040EC: E0511000 80050048
	s_add_u32 m0, 0xb00, s49                                   // 0000000040F4: 807C31FF 00000B00
	buffer_load_dword v73, s[20:23], 0 offen lds               // 0000000040FC: E0511000 80050049
	s_add_u32 m0, 0xc00, s49                                   // 000000004104: 807C31FF 00000C00
	buffer_load_dword v74, s[20:23], 0 offen lds               // 00000000410C: E0511000 8005004A
	s_add_u32 m0, 0xd00, s49                                   // 000000004114: 807C31FF 00000D00
	buffer_load_dword v75, s[20:23], 0 offen lds               // 00000000411C: E0511000 8005004B
	s_add_u32 m0, 0xe00, s49                                   // 000000004124: 807C31FF 00000E00
	buffer_load_dword v76, s[20:23], 0 offen lds               // 00000000412C: E0511000 8005004C
	s_add_u32 m0, 0xf00, s49                                   // 000000004134: 807C31FF 00000F00
	buffer_load_dword v77, s[20:23], 0 offen lds               // 00000000413C: E0511000 8005004D
	s_add_u32 m0, 0, s50                                       // 000000004144: 807C3280
	s_waitcnt vmcnt(18)                                        // 000000004148: BF8C4F72
	s_barrier                                                  // 00000000414C: BF8A0000
	v_mfma_f32_16x16x32_fp8_fp8 v[112:115], a[144:145], a[0:1], v[112:115]// 000000004150: D3F30070 1DC20190
	v_mfma_f32_16x16x32_fp8_fp8 v[112:115], a[146:147], a[2:3], v[112:115]// 000000004158: D3F30070 1DC20592
	buffer_load_dwordx4 a[136:139], v78, s[84:87], 0 offen     // 000000004160: E05C1000 8095884E
	v_mfma_f32_16x16x32_fp8_fp8 v[112:115], a[148:149], a[4:5], v[112:115]// 000000004168: D3F30070 1DC20994
	v_mfma_f32_16x16x32_fp8_fp8 v[112:115], a[150:151], a[6:7], v[112:115]// 000000004170: D3F30070 1DC20D96
	ds_read_b128 a[64:67], v2                                  // 000000004178: DBFE0000 40000002
	ds_read_b128 a[68:71], v2 offset:64                        // 000000004180: DBFE0040 44000002
	v_mfma_f32_16x16x32_fp8_fp8 v[116:119], a[144:145], a[8:9], v[116:119]// 000000004188: D3F30074 1DD21190
	v_mfma_f32_16x16x32_fp8_fp8 v[116:119], a[146:147], a[10:11], v[116:119]// 000000004190: D3F30074 1DD21592
	buffer_load_dwordx4 a[140:143], v78, s[84:87], 0 offen offset:1024// 000000004198: E05C1400 80958C4E
	v_mfma_f32_16x16x32_fp8_fp8 v[116:119], a[148:149], a[12:13], v[116:119]// 0000000041A0: D3F30074 1DD21994
	v_mfma_f32_16x16x32_fp8_fp8 v[116:119], a[150:151], a[14:15], v[116:119]// 0000000041A8: D3F30074 1DD21D96
	ds_read_b128 a[72:75], v2 offset:512                       // 0000000041B0: DBFE0200 48000002
	ds_read_b128 a[76:79], v2 offset:576                       // 0000000041B8: DBFE0240 4C000002
	v_mfma_f32_16x16x32_fp8_fp8 v[120:123], a[144:145], a[16:17], v[120:123]// 0000000041C0: D3F30078 1DE22190
	v_mfma_f32_16x16x32_fp8_fp8 v[120:123], a[146:147], a[18:19], v[120:123]// 0000000041C8: D3F30078 1DE22592
	v_mfma_f32_16x16x32_fp8_fp8 v[120:123], a[148:149], a[20:21], v[120:123]// 0000000041D0: D3F30078 1DE22994
	v_mfma_f32_16x16x32_fp8_fp8 v[120:123], a[150:151], a[22:23], v[120:123]// 0000000041D8: D3F30078 1DE22D96
	ds_read_b128 a[80:83], v2 offset:1024                      // 0000000041E0: DBFE0400 50000002
	ds_read_b128 a[84:87], v2 offset:1088                      // 0000000041E8: DBFE0440 54000002
	v_mfma_f32_16x16x32_fp8_fp8 v[124:127], a[144:145], a[24:25], v[124:127]// 0000000041F0: D3F3007C 1DF23190
	v_mfma_f32_16x16x32_fp8_fp8 v[124:127], a[146:147], a[26:27], v[124:127]// 0000000041F8: D3F3007C 1DF23592
	v_mfma_f32_16x16x32_fp8_fp8 v[124:127], a[148:149], a[28:29], v[124:127]// 000000004200: D3F3007C 1DF23994
	v_mfma_f32_16x16x32_fp8_fp8 v[124:127], a[150:151], a[30:31], v[124:127]// 000000004208: D3F3007C 1DF23D96
	ds_read_b128 a[88:91], v2 offset:1536                      // 000000004210: DBFE0600 58000002
	ds_read_b128 a[92:95], v2 offset:1600                      // 000000004218: DBFE0640 5C000002
	v_mfma_f32_16x16x32_fp8_fp8 v[128:131], a[144:145], a[32:33], v[128:131]// 000000004220: D3F30080 1E024190
	v_mfma_f32_16x16x32_fp8_fp8 v[128:131], a[146:147], a[34:35], v[128:131]// 000000004228: D3F30080 1E024592
	v_mfma_f32_16x16x32_fp8_fp8 v[128:131], a[148:149], a[36:37], v[128:131]// 000000004230: D3F30080 1E024994
	v_mfma_f32_16x16x32_fp8_fp8 v[128:131], a[150:151], a[38:39], v[128:131]// 000000004238: D3F30080 1E024D96
	ds_read_b128 a[96:99], v2 offset:2048                      // 000000004240: DBFE0800 60000002
	ds_read_b128 a[100:103], v2 offset:2112                    // 000000004248: DBFE0840 64000002
	v_mfma_f32_16x16x32_fp8_fp8 v[132:135], a[144:145], a[40:41], v[132:135]// 000000004250: D3F30084 1E125190
	v_mfma_f32_16x16x32_fp8_fp8 v[132:135], a[146:147], a[42:43], v[132:135]// 000000004258: D3F30084 1E125592
	v_mfma_f32_16x16x32_fp8_fp8 v[132:135], a[148:149], a[44:45], v[132:135]// 000000004260: D3F30084 1E125994
	v_mfma_f32_16x16x32_fp8_fp8 v[132:135], a[150:151], a[46:47], v[132:135]// 000000004268: D3F30084 1E125D96
	ds_read_b128 a[104:107], v2 offset:2560                    // 000000004270: DBFE0A00 68000002
	ds_read_b128 a[108:111], v2 offset:2624                    // 000000004278: DBFE0A40 6C000002
	v_mfma_f32_16x16x32_fp8_fp8 v[136:139], a[144:145], a[48:49], v[136:139]// 000000004280: D3F30088 1E226190
	s_add_u32 s60, 0x180, s80                                  // 000000004288: 803C50FF 00000180
	s_cmp_lt_u32 s60, s81                                      // 000000004290: BF0A513C
	s_cselect_b32 s57, s57, 0                                  // 000000004294: 85398039
	v_mfma_f32_16x16x32_fp8_fp8 v[136:139], a[146:147], a[50:51], v[136:139]// 000000004298: D3F30088 1E226592
	s_add_u32 s60, 0x100, s80                                  // 0000000042A0: 803C50FF 00000100
	s_cmp_lt_u32 s60, s81                                      // 0000000042A8: BF0A513C
	s_cselect_b32 s58, s58, 0                                  // 0000000042AC: 853A803A
	v_mfma_f32_16x16x32_fp8_fp8 v[136:139], a[148:149], a[52:53], v[136:139]// 0000000042B0: D3F30088 1E226994
	s_add_u32 s60, 0x100, s80                                  // 0000000042B8: 803C50FF 00000100
	s_cmp_lt_u32 s60, s81                                      // 0000000042C0: BF0A513C
	s_cselect_b32 s83, s83, 0                                  // 0000000042C4: 85538053
	v_mfma_f32_16x16x32_fp8_fp8 v[136:139], a[150:151], a[54:55], v[136:139]// 0000000042C8: D3F30088 1E226D96
	ds_read_b128 a[112:115], v2 offset:3072                    // 0000000042D0: DBFE0C00 70000002
	ds_read_b128 a[116:119], v2 offset:3136                    // 0000000042D8: DBFE0C40 74000002
	s_add_u32 s24, s58, s24                                    // 0000000042E0: 8018183A
	s_addc_u32 s25, 0, s25                                     // 0000000042E4: 82191980
	v_mfma_f32_16x16x32_fp8_fp8 v[140:143], a[144:145], a[56:57], v[140:143]// 0000000042E8: D3F3008C 1E327190
	s_add_u32 s20, s57, s20                                    // 0000000042F0: 80141439
	s_addc_u32 s21, 0, s21                                     // 0000000042F4: 82151580
	v_mfma_f32_16x16x32_fp8_fp8 v[140:143], a[146:147], a[58:59], v[140:143]// 0000000042F8: D3F3008C 1E327592
	s_add_u32 s84, s83, s84                                    // 000000004300: 80545453
	s_addc_u32 s85, 0, s85                                     // 000000004304: 82555580
	v_mfma_f32_16x16x32_fp8_fp8 v[140:143], a[148:149], a[60:61], v[140:143]// 000000004308: D3F3008C 1E327994
	v_mfma_f32_16x16x32_fp8_fp8 v[140:143], a[150:151], a[62:63], v[140:143]// 000000004310: D3F3008C 1E327D96
	ds_read_b128 a[120:123], v2 offset:3584                    // 000000004318: DBFE0E00 78000002
	ds_read_b128 a[124:127], v2 offset:3648                    // 000000004320: DBFE0E40 7C000002
	s_addk_i32 s80, 0x80                                       // 000000004328: B7500080
	s_cmp_lt_i32 s80, s81                                      // 00000000432C: BF045150
	s_cbranch_scc0 label_094B                                  // 000000004330: BF8402FE
	s_waitcnt vmcnt(18) lgkmcnt(0)                             // 000000004334: BF8C4072
	v_mfma_f32_16x16x32_fp8_fp8 v[80:83], a[128:129], a[64:65], v[80:83]// 000000004338: D3F30050 1D428180
	v_mfma_f32_16x16x32_fp8_fp8 v[80:83], a[130:131], a[66:67], v[80:83]// 000000004340: D3F30050 1D428582
	buffer_load_dwordx4 a[144:147], v78, s[24:27], 0 offen     // 000000004348: E05C1000 8086904E
	v_mfma_f32_16x16x32_fp8_fp8 v[80:83], a[132:133], a[68:69], v[80:83]// 000000004350: D3F30050 1D428984
	v_mfma_f32_16x16x32_fp8_fp8 v[80:83], a[134:135], a[70:71], v[80:83]// 000000004358: D3F30050 1D428D86
	v_mfma_f32_16x16x32_fp8_fp8 v[84:87], a[128:129], a[72:73], v[84:87]// 000000004360: D3F30054 1D529180
	v_mfma_f32_16x16x32_fp8_fp8 v[84:87], a[130:131], a[74:75], v[84:87]// 000000004368: D3F30054 1D529582
	buffer_load_dwordx4 a[148:151], v78, s[24:27], 0 offen offset:1024// 000000004370: E05C1400 8086944E
	buffer_load_dword v62, s[20:23], 0 offen lds               // 000000004378: E0511000 8005003E
	s_add_u32 m0, 0x100, s50                                   // 000000004380: 807C32FF 00000100
	v_mfma_f32_16x16x32_fp8_fp8 v[84:87], a[132:133], a[76:77], v[84:87]// 000000004388: D3F30054 1D529984
	v_mfma_f32_16x16x32_fp8_fp8 v[84:87], a[134:135], a[78:79], v[84:87]// 000000004390: D3F30054 1D529D86
	buffer_load_dword v63, s[20:23], 0 offen lds               // 000000004398: E0511000 8005003F
	s_add_u32 m0, 0x200, s50                                   // 0000000043A0: 807C32FF 00000200
	v_mfma_f32_16x16x32_fp8_fp8 v[88:91], a[128:129], a[80:81], v[88:91]// 0000000043A8: D3F30058 1D62A180
	v_mfma_f32_16x16x32_fp8_fp8 v[88:91], a[130:131], a[82:83], v[88:91]// 0000000043B0: D3F30058 1D62A582
	buffer_load_dword v64, s[20:23], 0 offen lds               // 0000000043B8: E0511000 80050040
	s_add_u32 m0, 0x300, s50                                   // 0000000043C0: 807C32FF 00000300
	v_mfma_f32_16x16x32_fp8_fp8 v[88:91], a[132:133], a[84:85], v[88:91]// 0000000043C8: D3F30058 1D62A984
	v_mfma_f32_16x16x32_fp8_fp8 v[88:91], a[134:135], a[86:87], v[88:91]// 0000000043D0: D3F30058 1D62AD86
	buffer_load_dword v65, s[20:23], 0 offen lds               // 0000000043D8: E0511000 80050041
	s_add_u32 m0, 0x400, s50                                   // 0000000043E0: 807C32FF 00000400
	v_mfma_f32_16x16x32_fp8_fp8 v[92:95], a[128:129], a[88:89], v[92:95]// 0000000043E8: D3F3005C 1D72B180
	v_mfma_f32_16x16x32_fp8_fp8 v[92:95], a[130:131], a[90:91], v[92:95]// 0000000043F0: D3F3005C 1D72B582
	buffer_load_dword v66, s[20:23], 0 offen lds               // 0000000043F8: E0511000 80050042
	s_add_u32 m0, 0x500, s50                                   // 000000004400: 807C32FF 00000500
	v_mfma_f32_16x16x32_fp8_fp8 v[92:95], a[132:133], a[92:93], v[92:95]// 000000004408: D3F3005C 1D72B984
	v_mfma_f32_16x16x32_fp8_fp8 v[92:95], a[134:135], a[94:95], v[92:95]// 000000004410: D3F3005C 1D72BD86
	buffer_load_dword v67, s[20:23], 0 offen lds               // 000000004418: E0511000 80050043
	s_add_u32 m0, 0x600, s50                                   // 000000004420: 807C32FF 00000600
	v_mfma_f32_16x16x32_fp8_fp8 v[96:99], a[128:129], a[96:97], v[96:99]// 000000004428: D3F30060 1D82C180
	v_mfma_f32_16x16x32_fp8_fp8 v[96:99], a[130:131], a[98:99], v[96:99]// 000000004430: D3F30060 1D82C582
	v_mfma_f32_16x16x32_fp8_fp8 v[96:99], a[132:133], a[100:101], v[96:99]// 000000004438: D3F30060 1D82C984
	v_mfma_f32_16x16x32_fp8_fp8 v[96:99], a[134:135], a[102:103], v[96:99]// 000000004440: D3F30060 1D82CD86
	v_mfma_f32_16x16x32_fp8_fp8 v[100:103], a[128:129], a[104:105], v[100:103]// 000000004448: D3F30064 1D92D180
	v_mfma_f32_16x16x32_fp8_fp8 v[100:103], a[130:131], a[106:107], v[100:103]// 000000004450: D3F30064 1D92D582
	buffer_load_dword v68, s[20:23], 0 offen lds               // 000000004458: E0511000 80050044
	s_add_u32 m0, 0x700, s50                                   // 000000004460: 807C32FF 00000700
	v_mfma_f32_16x16x32_fp8_fp8 v[100:103], a[132:133], a[108:109], v[100:103]// 000000004468: D3F30064 1D92D984
	v_mfma_f32_16x16x32_fp8_fp8 v[100:103], a[134:135], a[110:111], v[100:103]// 000000004470: D3F30064 1D92DD86
	buffer_load_dword v69, s[20:23], 0 offen lds               // 000000004478: E0511000 80050045
	s_add_u32 m0, 0x800, s50                                   // 000000004480: 807C32FF 00000800
	v_mfma_f32_16x16x32_fp8_fp8 v[104:107], a[128:129], a[112:113], v[104:107]// 000000004488: D3F30068 1DA2E180
	v_mfma_f32_16x16x32_fp8_fp8 v[104:107], a[130:131], a[114:115], v[104:107]// 000000004490: D3F30068 1DA2E582
	v_mfma_f32_16x16x32_fp8_fp8 v[104:107], a[132:133], a[116:117], v[104:107]// 000000004498: D3F30068 1DA2E984
	v_mfma_f32_16x16x32_fp8_fp8 v[104:107], a[134:135], a[118:119], v[104:107]// 0000000044A0: D3F30068 1DA2ED86
	v_mfma_f32_16x16x32_fp8_fp8 v[108:111], a[128:129], a[120:121], v[108:111]// 0000000044A8: D3F3006C 1DB2F180
	v_mfma_f32_16x16x32_fp8_fp8 v[108:111], a[130:131], a[122:123], v[108:111]// 0000000044B0: D3F3006C 1DB2F582
	buffer_load_dword v70, s[20:23], 0 offen lds               // 0000000044B8: E0511000 80050046
	s_add_u32 m0, 0x900, s50                                   // 0000000044C0: 807C32FF 00000900
	v_mfma_f32_16x16x32_fp8_fp8 v[108:111], a[132:133], a[124:125], v[108:111]// 0000000044C8: D3F3006C 1DB2F984
	v_mfma_f32_16x16x32_fp8_fp8 v[108:111], a[134:135], a[126:127], v[108:111]// 0000000044D0: D3F3006C 1DB2FD86
	buffer_load_dword v71, s[20:23], 0 offen lds               // 0000000044D8: E0511000 80050047
	s_add_u32 m0, 0xa00, s50                                   // 0000000044E0: 807C32FF 00000A00
	buffer_load_dword v72, s[20:23], 0 offen lds               // 0000000044E8: E0511000 80050048
	s_add_u32 m0, 0xb00, s50                                   // 0000000044F0: 807C32FF 00000B00
	buffer_load_dword v73, s[20:23], 0 offen lds               // 0000000044F8: E0511000 80050049
	s_add_u32 m0, 0xc00, s50                                   // 000000004500: 807C32FF 00000C00
	buffer_load_dword v74, s[20:23], 0 offen lds               // 000000004508: E0511000 8005004A
	s_add_u32 m0, 0xd00, s50                                   // 000000004510: 807C32FF 00000D00
	buffer_load_dword v75, s[20:23], 0 offen lds               // 000000004518: E0511000 8005004B
	s_add_u32 m0, 0xe00, s50                                   // 000000004520: 807C32FF 00000E00
	buffer_load_dword v76, s[20:23], 0 offen lds               // 000000004528: E0511000 8005004C
	s_add_u32 m0, 0xf00, s50                                   // 000000004530: 807C32FF 00000F00
	buffer_load_dword v77, s[20:23], 0 offen lds               // 000000004538: E0511000 8005004D
	s_add_u32 m0, 0, s48                                       // 000000004540: 807C3080
	s_waitcnt vmcnt(18)                                        // 000000004544: BF8C4F72
	s_barrier                                                  // 000000004548: BF8A0000
	v_mfma_f32_16x16x32_fp8_fp8 v[112:115], a[136:137], a[64:65], v[112:115]// 00000000454C: D3F30070 1DC28188
	v_mfma_f32_16x16x32_fp8_fp8 v[112:115], a[138:139], a[66:67], v[112:115]// 000000004554: D3F30070 1DC2858A
	buffer_load_dwordx4 a[128:131], v78, s[84:87], 0 offen     // 00000000455C: E05C1000 8095804E
	v_mfma_f32_16x16x32_fp8_fp8 v[112:115], a[140:141], a[68:69], v[112:115]// 000000004564: D3F30070 1DC2898C
	v_mfma_f32_16x16x32_fp8_fp8 v[112:115], a[142:143], a[70:71], v[112:115]// 00000000456C: D3F30070 1DC28D8E
	ds_read_b128 a[0:3], v2 offset:16512                       // 000000004574: DBFE4080 00000002
	ds_read_b128 a[4:7], v2 offset:16576                       // 00000000457C: DBFE40C0 04000002
	v_mfma_f32_16x16x32_fp8_fp8 v[116:119], a[136:137], a[72:73], v[116:119]// 000000004584: D3F30074 1DD29188
	v_mfma_f32_16x16x32_fp8_fp8 v[116:119], a[138:139], a[74:75], v[116:119]// 00000000458C: D3F30074 1DD2958A
	buffer_load_dwordx4 a[132:135], v78, s[84:87], 0 offen offset:1024// 000000004594: E05C1400 8095844E
	v_mfma_f32_16x16x32_fp8_fp8 v[116:119], a[140:141], a[76:77], v[116:119]// 00000000459C: D3F30074 1DD2998C
	v_mfma_f32_16x16x32_fp8_fp8 v[116:119], a[142:143], a[78:79], v[116:119]// 0000000045A4: D3F30074 1DD29D8E
	ds_read_b128 a[8:11], v2 offset:17024                      // 0000000045AC: DBFE4280 08000002
	ds_read_b128 a[12:15], v2 offset:17088                     // 0000000045B4: DBFE42C0 0C000002
	v_mfma_f32_16x16x32_fp8_fp8 v[120:123], a[136:137], a[80:81], v[120:123]// 0000000045BC: D3F30078 1DE2A188
	v_mfma_f32_16x16x32_fp8_fp8 v[120:123], a[138:139], a[82:83], v[120:123]// 0000000045C4: D3F30078 1DE2A58A
	v_mfma_f32_16x16x32_fp8_fp8 v[120:123], a[140:141], a[84:85], v[120:123]// 0000000045CC: D3F30078 1DE2A98C
	v_mfma_f32_16x16x32_fp8_fp8 v[120:123], a[142:143], a[86:87], v[120:123]// 0000000045D4: D3F30078 1DE2AD8E
	ds_read_b128 a[16:19], v2 offset:17536                     // 0000000045DC: DBFE4480 10000002
	ds_read_b128 a[20:23], v2 offset:17600                     // 0000000045E4: DBFE44C0 14000002
	v_mfma_f32_16x16x32_fp8_fp8 v[124:127], a[136:137], a[88:89], v[124:127]// 0000000045EC: D3F3007C 1DF2B188
	v_mfma_f32_16x16x32_fp8_fp8 v[124:127], a[138:139], a[90:91], v[124:127]// 0000000045F4: D3F3007C 1DF2B58A
	v_mfma_f32_16x16x32_fp8_fp8 v[124:127], a[140:141], a[92:93], v[124:127]// 0000000045FC: D3F3007C 1DF2B98C
	v_mfma_f32_16x16x32_fp8_fp8 v[124:127], a[142:143], a[94:95], v[124:127]// 000000004604: D3F3007C 1DF2BD8E
	ds_read_b128 a[24:27], v2 offset:18048                     // 00000000460C: DBFE4680 18000002
	ds_read_b128 a[28:31], v2 offset:18112                     // 000000004614: DBFE46C0 1C000002
	v_mfma_f32_16x16x32_fp8_fp8 v[128:131], a[136:137], a[96:97], v[128:131]// 00000000461C: D3F30080 1E02C188
	v_mfma_f32_16x16x32_fp8_fp8 v[128:131], a[138:139], a[98:99], v[128:131]// 000000004624: D3F30080 1E02C58A
	v_mfma_f32_16x16x32_fp8_fp8 v[128:131], a[140:141], a[100:101], v[128:131]// 00000000462C: D3F30080 1E02C98C
	v_mfma_f32_16x16x32_fp8_fp8 v[128:131], a[142:143], a[102:103], v[128:131]// 000000004634: D3F30080 1E02CD8E
	ds_read_b128 a[32:35], v2 offset:18560                     // 00000000463C: DBFE4880 20000002
	ds_read_b128 a[36:39], v2 offset:18624                     // 000000004644: DBFE48C0 24000002
	v_mfma_f32_16x16x32_fp8_fp8 v[132:135], a[136:137], a[104:105], v[132:135]// 00000000464C: D3F30084 1E12D188
	v_mfma_f32_16x16x32_fp8_fp8 v[132:135], a[138:139], a[106:107], v[132:135]// 000000004654: D3F30084 1E12D58A
	v_mfma_f32_16x16x32_fp8_fp8 v[132:135], a[140:141], a[108:109], v[132:135]// 00000000465C: D3F30084 1E12D98C
	v_mfma_f32_16x16x32_fp8_fp8 v[132:135], a[142:143], a[110:111], v[132:135]// 000000004664: D3F30084 1E12DD8E
	ds_read_b128 a[40:43], v2 offset:19072                     // 00000000466C: DBFE4A80 28000002
	ds_read_b128 a[44:47], v2 offset:19136                     // 000000004674: DBFE4AC0 2C000002
	v_mfma_f32_16x16x32_fp8_fp8 v[136:139], a[136:137], a[112:113], v[136:139]// 00000000467C: D3F30088 1E22E188
	s_add_u32 s60, 0x180, s80                                  // 000000004684: 803C50FF 00000180
	s_cmp_lt_u32 s60, s81                                      // 00000000468C: BF0A513C
	s_cselect_b32 s57, s57, 0                                  // 000000004690: 85398039
	v_mfma_f32_16x16x32_fp8_fp8 v[136:139], a[138:139], a[114:115], v[136:139]// 000000004694: D3F30088 1E22E58A
	s_add_u32 s60, 0x100, s80                                  // 00000000469C: 803C50FF 00000100
	s_cmp_lt_u32 s60, s81                                      // 0000000046A4: BF0A513C
	s_cselect_b32 s58, s58, 0                                  // 0000000046A8: 853A803A
	v_mfma_f32_16x16x32_fp8_fp8 v[136:139], a[140:141], a[116:117], v[136:139]// 0000000046AC: D3F30088 1E22E98C
	s_add_u32 s60, 0x100, s80                                  // 0000000046B4: 803C50FF 00000100
	s_cmp_lt_u32 s60, s81                                      // 0000000046BC: BF0A513C
	s_cselect_b32 s83, s83, 0                                  // 0000000046C0: 85538053
	v_mfma_f32_16x16x32_fp8_fp8 v[136:139], a[142:143], a[118:119], v[136:139]// 0000000046C4: D3F30088 1E22ED8E
	ds_read_b128 a[48:51], v2 offset:19584                     // 0000000046CC: DBFE4C80 30000002
	ds_read_b128 a[52:55], v2 offset:19648                     // 0000000046D4: DBFE4CC0 34000002
	s_add_u32 s24, s58, s24                                    // 0000000046DC: 8018183A
	s_addc_u32 s25, 0, s25                                     // 0000000046E0: 82191980
	v_mfma_f32_16x16x32_fp8_fp8 v[140:143], a[136:137], a[120:121], v[140:143]// 0000000046E4: D3F3008C 1E32F188
	s_add_u32 s20, s57, s20                                    // 0000000046EC: 80141439
	s_addc_u32 s21, 0, s21                                     // 0000000046F0: 82151580
	v_mfma_f32_16x16x32_fp8_fp8 v[140:143], a[138:139], a[122:123], v[140:143]// 0000000046F4: D3F3008C 1E32F58A
	s_add_u32 s84, s83, s84                                    // 0000000046FC: 80545453
	s_addc_u32 s85, 0, s85                                     // 000000004700: 82555580
	v_mfma_f32_16x16x32_fp8_fp8 v[140:143], a[140:141], a[124:125], v[140:143]// 000000004704: D3F3008C 1E32F98C
	v_mfma_f32_16x16x32_fp8_fp8 v[140:143], a[142:143], a[126:127], v[140:143]// 00000000470C: D3F3008C 1E32FD8E
	ds_read_b128 a[56:59], v2 offset:20096                     // 000000004714: DBFE4E80 38000002
	ds_read_b128 a[60:63], v2 offset:20160                     // 00000000471C: DBFE4EC0 3C000002
	s_addk_i32 s80, 0x80                                       // 000000004724: B7500080
	s_cmp_lt_i32 s80, s81                                      // 000000004728: BF045150
	s_cbranch_scc0 label_094B                                  // 00000000472C: BF8401FF
	s_waitcnt vmcnt(18) lgkmcnt(0)                             // 000000004730: BF8C4072
	v_mfma_f32_16x16x32_fp8_fp8 v[80:83], a[144:145], a[0:1], v[80:83]// 000000004734: D3F30050 1D420190
	v_mfma_f32_16x16x32_fp8_fp8 v[80:83], a[146:147], a[2:3], v[80:83]// 00000000473C: D3F30050 1D420592
	buffer_load_dwordx4 a[136:139], v78, s[24:27], 0 offen     // 000000004744: E05C1000 8086884E
	v_mfma_f32_16x16x32_fp8_fp8 v[80:83], a[148:149], a[4:5], v[80:83]// 00000000474C: D3F30050 1D420994
	v_mfma_f32_16x16x32_fp8_fp8 v[80:83], a[150:151], a[6:7], v[80:83]// 000000004754: D3F30050 1D420D96
	v_mfma_f32_16x16x32_fp8_fp8 v[84:87], a[144:145], a[8:9], v[84:87]// 00000000475C: D3F30054 1D521190
	v_mfma_f32_16x16x32_fp8_fp8 v[84:87], a[146:147], a[10:11], v[84:87]// 000000004764: D3F30054 1D521592
	buffer_load_dwordx4 a[140:143], v78, s[24:27], 0 offen offset:1024// 00000000476C: E05C1400 80868C4E
	buffer_load_dword v62, s[20:23], 0 offen lds               // 000000004774: E0511000 8005003E
	s_add_u32 m0, 0x100, s48                                   // 00000000477C: 807C30FF 00000100
	v_mfma_f32_16x16x32_fp8_fp8 v[84:87], a[148:149], a[12:13], v[84:87]// 000000004784: D3F30054 1D521994
	v_mfma_f32_16x16x32_fp8_fp8 v[84:87], a[150:151], a[14:15], v[84:87]// 00000000478C: D3F30054 1D521D96
	buffer_load_dword v63, s[20:23], 0 offen lds               // 000000004794: E0511000 8005003F
	s_add_u32 m0, 0x200, s48                                   // 00000000479C: 807C30FF 00000200
	v_mfma_f32_16x16x32_fp8_fp8 v[88:91], a[144:145], a[16:17], v[88:91]// 0000000047A4: D3F30058 1D622190
	v_mfma_f32_16x16x32_fp8_fp8 v[88:91], a[146:147], a[18:19], v[88:91]// 0000000047AC: D3F30058 1D622592
	buffer_load_dword v64, s[20:23], 0 offen lds               // 0000000047B4: E0511000 80050040
	s_add_u32 m0, 0x300, s48                                   // 0000000047BC: 807C30FF 00000300
	v_mfma_f32_16x16x32_fp8_fp8 v[88:91], a[148:149], a[20:21], v[88:91]// 0000000047C4: D3F30058 1D622994
	v_mfma_f32_16x16x32_fp8_fp8 v[88:91], a[150:151], a[22:23], v[88:91]// 0000000047CC: D3F30058 1D622D96
	buffer_load_dword v65, s[20:23], 0 offen lds               // 0000000047D4: E0511000 80050041
	s_add_u32 m0, 0x400, s48                                   // 0000000047DC: 807C30FF 00000400
	v_mfma_f32_16x16x32_fp8_fp8 v[92:95], a[144:145], a[24:25], v[92:95]// 0000000047E4: D3F3005C 1D723190
	v_mfma_f32_16x16x32_fp8_fp8 v[92:95], a[146:147], a[26:27], v[92:95]// 0000000047EC: D3F3005C 1D723592
	buffer_load_dword v66, s[20:23], 0 offen lds               // 0000000047F4: E0511000 80050042
	s_add_u32 m0, 0x500, s48                                   // 0000000047FC: 807C30FF 00000500
	v_mfma_f32_16x16x32_fp8_fp8 v[92:95], a[148:149], a[28:29], v[92:95]// 000000004804: D3F3005C 1D723994
	v_mfma_f32_16x16x32_fp8_fp8 v[92:95], a[150:151], a[30:31], v[92:95]// 00000000480C: D3F3005C 1D723D96
	buffer_load_dword v67, s[20:23], 0 offen lds               // 000000004814: E0511000 80050043
	s_add_u32 m0, 0x600, s48                                   // 00000000481C: 807C30FF 00000600
	v_mfma_f32_16x16x32_fp8_fp8 v[96:99], a[144:145], a[32:33], v[96:99]// 000000004824: D3F30060 1D824190
	v_mfma_f32_16x16x32_fp8_fp8 v[96:99], a[146:147], a[34:35], v[96:99]// 00000000482C: D3F30060 1D824592
	v_mfma_f32_16x16x32_fp8_fp8 v[96:99], a[148:149], a[36:37], v[96:99]// 000000004834: D3F30060 1D824994
	v_mfma_f32_16x16x32_fp8_fp8 v[96:99], a[150:151], a[38:39], v[96:99]// 00000000483C: D3F30060 1D824D96
	v_mfma_f32_16x16x32_fp8_fp8 v[100:103], a[144:145], a[40:41], v[100:103]// 000000004844: D3F30064 1D925190
	v_mfma_f32_16x16x32_fp8_fp8 v[100:103], a[146:147], a[42:43], v[100:103]// 00000000484C: D3F30064 1D925592
	buffer_load_dword v68, s[20:23], 0 offen lds               // 000000004854: E0511000 80050044
	s_add_u32 m0, 0x700, s48                                   // 00000000485C: 807C30FF 00000700
	v_mfma_f32_16x16x32_fp8_fp8 v[100:103], a[148:149], a[44:45], v[100:103]// 000000004864: D3F30064 1D925994
	v_mfma_f32_16x16x32_fp8_fp8 v[100:103], a[150:151], a[46:47], v[100:103]// 00000000486C: D3F30064 1D925D96
	buffer_load_dword v69, s[20:23], 0 offen lds               // 000000004874: E0511000 80050045
	s_add_u32 m0, 0x800, s48                                   // 00000000487C: 807C30FF 00000800
	v_mfma_f32_16x16x32_fp8_fp8 v[104:107], a[144:145], a[48:49], v[104:107]// 000000004884: D3F30068 1DA26190
	v_mfma_f32_16x16x32_fp8_fp8 v[104:107], a[146:147], a[50:51], v[104:107]// 00000000488C: D3F30068 1DA26592
	v_mfma_f32_16x16x32_fp8_fp8 v[104:107], a[148:149], a[52:53], v[104:107]// 000000004894: D3F30068 1DA26994
	v_mfma_f32_16x16x32_fp8_fp8 v[104:107], a[150:151], a[54:55], v[104:107]// 00000000489C: D3F30068 1DA26D96
	v_mfma_f32_16x16x32_fp8_fp8 v[108:111], a[144:145], a[56:57], v[108:111]// 0000000048A4: D3F3006C 1DB27190
	v_mfma_f32_16x16x32_fp8_fp8 v[108:111], a[146:147], a[58:59], v[108:111]// 0000000048AC: D3F3006C 1DB27592
	buffer_load_dword v70, s[20:23], 0 offen lds               // 0000000048B4: E0511000 80050046
	s_add_u32 m0, 0x900, s48                                   // 0000000048BC: 807C30FF 00000900
	v_mfma_f32_16x16x32_fp8_fp8 v[108:111], a[148:149], a[60:61], v[108:111]// 0000000048C4: D3F3006C 1DB27994
	v_mfma_f32_16x16x32_fp8_fp8 v[108:111], a[150:151], a[62:63], v[108:111]// 0000000048CC: D3F3006C 1DB27D96
	buffer_load_dword v71, s[20:23], 0 offen lds               // 0000000048D4: E0511000 80050047
	s_add_u32 m0, 0xa00, s48                                   // 0000000048DC: 807C30FF 00000A00
	buffer_load_dword v72, s[20:23], 0 offen lds               // 0000000048E4: E0511000 80050048
	s_add_u32 m0, 0xb00, s48                                   // 0000000048EC: 807C30FF 00000B00
	buffer_load_dword v73, s[20:23], 0 offen lds               // 0000000048F4: E0511000 80050049
	s_add_u32 m0, 0xc00, s48                                   // 0000000048FC: 807C30FF 00000C00
	buffer_load_dword v74, s[20:23], 0 offen lds               // 000000004904: E0511000 8005004A
	s_add_u32 m0, 0xd00, s48                                   // 00000000490C: 807C30FF 00000D00
	buffer_load_dword v75, s[20:23], 0 offen lds               // 000000004914: E0511000 8005004B
	s_add_u32 m0, 0xe00, s48                                   // 00000000491C: 807C30FF 00000E00
	buffer_load_dword v76, s[20:23], 0 offen lds               // 000000004924: E0511000 8005004C
	s_add_u32 m0, 0xf00, s48                                   // 00000000492C: 807C30FF 00000F00
	buffer_load_dword v77, s[20:23], 0 offen lds               // 000000004934: E0511000 8005004D
	s_add_u32 m0, 0, s49                                       // 00000000493C: 807C3180
	s_waitcnt vmcnt(18)                                        // 000000004940: BF8C4F72
	s_barrier                                                  // 000000004944: BF8A0000
	v_mfma_f32_16x16x32_fp8_fp8 v[112:115], a[128:129], a[0:1], v[112:115]// 000000004948: D3F30070 1DC20180
	v_mfma_f32_16x16x32_fp8_fp8 v[112:115], a[130:131], a[2:3], v[112:115]// 000000004950: D3F30070 1DC20582
	buffer_load_dwordx4 a[144:147], v78, s[84:87], 0 offen     // 000000004958: E05C1000 8095904E
	v_mfma_f32_16x16x32_fp8_fp8 v[112:115], a[132:133], a[4:5], v[112:115]// 000000004960: D3F30070 1DC20984
	v_mfma_f32_16x16x32_fp8_fp8 v[112:115], a[134:135], a[6:7], v[112:115]// 000000004968: D3F30070 1DC20D86
	ds_read_b128 a[64:67], v2 offset:33024                     // 000000004970: DBFE8100 40000002
	ds_read_b128 a[68:71], v2 offset:33088                     // 000000004978: DBFE8140 44000002
	v_mfma_f32_16x16x32_fp8_fp8 v[116:119], a[128:129], a[8:9], v[116:119]// 000000004980: D3F30074 1DD21180
	v_mfma_f32_16x16x32_fp8_fp8 v[116:119], a[130:131], a[10:11], v[116:119]// 000000004988: D3F30074 1DD21582
	buffer_load_dwordx4 a[148:151], v78, s[84:87], 0 offen offset:1024// 000000004990: E05C1400 8095944E
	v_mfma_f32_16x16x32_fp8_fp8 v[116:119], a[132:133], a[12:13], v[116:119]// 000000004998: D3F30074 1DD21984
	v_mfma_f32_16x16x32_fp8_fp8 v[116:119], a[134:135], a[14:15], v[116:119]// 0000000049A0: D3F30074 1DD21D86
	ds_read_b128 a[72:75], v2 offset:33536                     // 0000000049A8: DBFE8300 48000002
	ds_read_b128 a[76:79], v2 offset:33600                     // 0000000049B0: DBFE8340 4C000002
	v_mfma_f32_16x16x32_fp8_fp8 v[120:123], a[128:129], a[16:17], v[120:123]// 0000000049B8: D3F30078 1DE22180
	v_mfma_f32_16x16x32_fp8_fp8 v[120:123], a[130:131], a[18:19], v[120:123]// 0000000049C0: D3F30078 1DE22582
	v_mfma_f32_16x16x32_fp8_fp8 v[120:123], a[132:133], a[20:21], v[120:123]// 0000000049C8: D3F30078 1DE22984
	v_mfma_f32_16x16x32_fp8_fp8 v[120:123], a[134:135], a[22:23], v[120:123]// 0000000049D0: D3F30078 1DE22D86
	ds_read_b128 a[80:83], v2 offset:34048                     // 0000000049D8: DBFE8500 50000002
	ds_read_b128 a[84:87], v2 offset:34112                     // 0000000049E0: DBFE8540 54000002
	v_mfma_f32_16x16x32_fp8_fp8 v[124:127], a[128:129], a[24:25], v[124:127]// 0000000049E8: D3F3007C 1DF23180
	v_mfma_f32_16x16x32_fp8_fp8 v[124:127], a[130:131], a[26:27], v[124:127]// 0000000049F0: D3F3007C 1DF23582
	v_mfma_f32_16x16x32_fp8_fp8 v[124:127], a[132:133], a[28:29], v[124:127]// 0000000049F8: D3F3007C 1DF23984
	v_mfma_f32_16x16x32_fp8_fp8 v[124:127], a[134:135], a[30:31], v[124:127]// 000000004A00: D3F3007C 1DF23D86
	ds_read_b128 a[88:91], v2 offset:34560                     // 000000004A08: DBFE8700 58000002
	ds_read_b128 a[92:95], v2 offset:34624                     // 000000004A10: DBFE8740 5C000002
	v_mfma_f32_16x16x32_fp8_fp8 v[128:131], a[128:129], a[32:33], v[128:131]// 000000004A18: D3F30080 1E024180
	v_mfma_f32_16x16x32_fp8_fp8 v[128:131], a[130:131], a[34:35], v[128:131]// 000000004A20: D3F30080 1E024582
	v_mfma_f32_16x16x32_fp8_fp8 v[128:131], a[132:133], a[36:37], v[128:131]// 000000004A28: D3F30080 1E024984
	v_mfma_f32_16x16x32_fp8_fp8 v[128:131], a[134:135], a[38:39], v[128:131]// 000000004A30: D3F30080 1E024D86
	ds_read_b128 a[96:99], v2 offset:35072                     // 000000004A38: DBFE8900 60000002
	ds_read_b128 a[100:103], v2 offset:35136                   // 000000004A40: DBFE8940 64000002
	v_mfma_f32_16x16x32_fp8_fp8 v[132:135], a[128:129], a[40:41], v[132:135]// 000000004A48: D3F30084 1E125180
	v_mfma_f32_16x16x32_fp8_fp8 v[132:135], a[130:131], a[42:43], v[132:135]// 000000004A50: D3F30084 1E125582
	v_mfma_f32_16x16x32_fp8_fp8 v[132:135], a[132:133], a[44:45], v[132:135]// 000000004A58: D3F30084 1E125984
	v_mfma_f32_16x16x32_fp8_fp8 v[132:135], a[134:135], a[46:47], v[132:135]// 000000004A60: D3F30084 1E125D86
	ds_read_b128 a[104:107], v2 offset:35584                   // 000000004A68: DBFE8B00 68000002
	ds_read_b128 a[108:111], v2 offset:35648                   // 000000004A70: DBFE8B40 6C000002
	v_mfma_f32_16x16x32_fp8_fp8 v[136:139], a[128:129], a[48:49], v[136:139]// 000000004A78: D3F30088 1E226180
	s_add_u32 s60, 0x180, s80                                  // 000000004A80: 803C50FF 00000180
	s_cmp_lt_u32 s60, s81                                      // 000000004A88: BF0A513C
	s_cselect_b32 s57, s57, 0                                  // 000000004A8C: 85398039
	v_mfma_f32_16x16x32_fp8_fp8 v[136:139], a[130:131], a[50:51], v[136:139]// 000000004A90: D3F30088 1E226582
	s_add_u32 s60, 0x100, s80                                  // 000000004A98: 803C50FF 00000100
	s_cmp_lt_u32 s60, s81                                      // 000000004AA0: BF0A513C
	s_cselect_b32 s58, s58, 0                                  // 000000004AA4: 853A803A
	v_mfma_f32_16x16x32_fp8_fp8 v[136:139], a[132:133], a[52:53], v[136:139]// 000000004AA8: D3F30088 1E226984
	s_add_u32 s60, 0x100, s80                                  // 000000004AB0: 803C50FF 00000100
	s_cmp_lt_u32 s60, s81                                      // 000000004AB8: BF0A513C
	s_cselect_b32 s83, s83, 0                                  // 000000004ABC: 85538053
	v_mfma_f32_16x16x32_fp8_fp8 v[136:139], a[134:135], a[54:55], v[136:139]// 000000004AC0: D3F30088 1E226D86
	ds_read_b128 a[112:115], v2 offset:36096                   // 000000004AC8: DBFE8D00 70000002
	ds_read_b128 a[116:119], v2 offset:36160                   // 000000004AD0: DBFE8D40 74000002
	s_add_u32 s24, s58, s24                                    // 000000004AD8: 8018183A
	s_addc_u32 s25, 0, s25                                     // 000000004ADC: 82191980
	v_mfma_f32_16x16x32_fp8_fp8 v[140:143], a[128:129], a[56:57], v[140:143]// 000000004AE0: D3F3008C 1E327180
	s_add_u32 s20, s57, s20                                    // 000000004AE8: 80141439
	s_addc_u32 s21, 0, s21                                     // 000000004AEC: 82151580
	v_mfma_f32_16x16x32_fp8_fp8 v[140:143], a[130:131], a[58:59], v[140:143]// 000000004AF0: D3F3008C 1E327582
	s_add_u32 s84, s83, s84                                    // 000000004AF8: 80545453
	s_addc_u32 s85, 0, s85                                     // 000000004AFC: 82555580
	v_mfma_f32_16x16x32_fp8_fp8 v[140:143], a[132:133], a[60:61], v[140:143]// 000000004B00: D3F3008C 1E327984
	v_mfma_f32_16x16x32_fp8_fp8 v[140:143], a[134:135], a[62:63], v[140:143]// 000000004B08: D3F3008C 1E327D86
	ds_read_b128 a[120:123], v2 offset:36608                   // 000000004B10: DBFE8F00 78000002
	ds_read_b128 a[124:127], v2 offset:36672                   // 000000004B18: DBFE8F40 7C000002
	s_addk_i32 s80, 0x80                                       // 000000004B20: B7500080
	s_cmp_lt_i32 s80, s81                                      // 000000004B24: BF045150
	s_cbranch_scc0 label_094B                                  // 000000004B28: BF840100
	s_waitcnt vmcnt(18) lgkmcnt(0)                             // 000000004B2C: BF8C4072
	v_mfma_f32_16x16x32_fp8_fp8 v[80:83], a[136:137], a[64:65], v[80:83]// 000000004B30: D3F30050 1D428188
	v_mfma_f32_16x16x32_fp8_fp8 v[80:83], a[138:139], a[66:67], v[80:83]// 000000004B38: D3F30050 1D42858A
	buffer_load_dwordx4 a[128:131], v78, s[24:27], 0 offen     // 000000004B40: E05C1000 8086804E
	v_mfma_f32_16x16x32_fp8_fp8 v[80:83], a[140:141], a[68:69], v[80:83]// 000000004B48: D3F30050 1D42898C
	v_mfma_f32_16x16x32_fp8_fp8 v[80:83], a[142:143], a[70:71], v[80:83]// 000000004B50: D3F30050 1D428D8E
	v_mfma_f32_16x16x32_fp8_fp8 v[84:87], a[136:137], a[72:73], v[84:87]// 000000004B58: D3F30054 1D529188
	v_mfma_f32_16x16x32_fp8_fp8 v[84:87], a[138:139], a[74:75], v[84:87]// 000000004B60: D3F30054 1D52958A
	buffer_load_dwordx4 a[132:135], v78, s[24:27], 0 offen offset:1024// 000000004B68: E05C1400 8086844E
	buffer_load_dword v62, s[20:23], 0 offen lds               // 000000004B70: E0511000 8005003E
	s_add_u32 m0, 0x100, s49                                   // 000000004B78: 807C31FF 00000100
	v_mfma_f32_16x16x32_fp8_fp8 v[84:87], a[140:141], a[76:77], v[84:87]// 000000004B80: D3F30054 1D52998C
	v_mfma_f32_16x16x32_fp8_fp8 v[84:87], a[142:143], a[78:79], v[84:87]// 000000004B88: D3F30054 1D529D8E
	buffer_load_dword v63, s[20:23], 0 offen lds               // 000000004B90: E0511000 8005003F
	s_add_u32 m0, 0x200, s49                                   // 000000004B98: 807C31FF 00000200
	v_mfma_f32_16x16x32_fp8_fp8 v[88:91], a[136:137], a[80:81], v[88:91]// 000000004BA0: D3F30058 1D62A188
	v_mfma_f32_16x16x32_fp8_fp8 v[88:91], a[138:139], a[82:83], v[88:91]// 000000004BA8: D3F30058 1D62A58A
	buffer_load_dword v64, s[20:23], 0 offen lds               // 000000004BB0: E0511000 80050040
	s_add_u32 m0, 0x300, s49                                   // 000000004BB8: 807C31FF 00000300
	v_mfma_f32_16x16x32_fp8_fp8 v[88:91], a[140:141], a[84:85], v[88:91]// 000000004BC0: D3F30058 1D62A98C
	v_mfma_f32_16x16x32_fp8_fp8 v[88:91], a[142:143], a[86:87], v[88:91]// 000000004BC8: D3F30058 1D62AD8E
	buffer_load_dword v65, s[20:23], 0 offen lds               // 000000004BD0: E0511000 80050041
	s_add_u32 m0, 0x400, s49                                   // 000000004BD8: 807C31FF 00000400
	v_mfma_f32_16x16x32_fp8_fp8 v[92:95], a[136:137], a[88:89], v[92:95]// 000000004BE0: D3F3005C 1D72B188
	v_mfma_f32_16x16x32_fp8_fp8 v[92:95], a[138:139], a[90:91], v[92:95]// 000000004BE8: D3F3005C 1D72B58A
	buffer_load_dword v66, s[20:23], 0 offen lds               // 000000004BF0: E0511000 80050042
	s_add_u32 m0, 0x500, s49                                   // 000000004BF8: 807C31FF 00000500
	v_mfma_f32_16x16x32_fp8_fp8 v[92:95], a[140:141], a[92:93], v[92:95]// 000000004C00: D3F3005C 1D72B98C
	v_mfma_f32_16x16x32_fp8_fp8 v[92:95], a[142:143], a[94:95], v[92:95]// 000000004C08: D3F3005C 1D72BD8E
	buffer_load_dword v67, s[20:23], 0 offen lds               // 000000004C10: E0511000 80050043
	s_add_u32 m0, 0x600, s49                                   // 000000004C18: 807C31FF 00000600
	v_mfma_f32_16x16x32_fp8_fp8 v[96:99], a[136:137], a[96:97], v[96:99]// 000000004C20: D3F30060 1D82C188
	v_mfma_f32_16x16x32_fp8_fp8 v[96:99], a[138:139], a[98:99], v[96:99]// 000000004C28: D3F30060 1D82C58A
	v_mfma_f32_16x16x32_fp8_fp8 v[96:99], a[140:141], a[100:101], v[96:99]// 000000004C30: D3F30060 1D82C98C
	v_mfma_f32_16x16x32_fp8_fp8 v[96:99], a[142:143], a[102:103], v[96:99]// 000000004C38: D3F30060 1D82CD8E
	v_mfma_f32_16x16x32_fp8_fp8 v[100:103], a[136:137], a[104:105], v[100:103]// 000000004C40: D3F30064 1D92D188
	v_mfma_f32_16x16x32_fp8_fp8 v[100:103], a[138:139], a[106:107], v[100:103]// 000000004C48: D3F30064 1D92D58A
	buffer_load_dword v68, s[20:23], 0 offen lds               // 000000004C50: E0511000 80050044
	s_add_u32 m0, 0x700, s49                                   // 000000004C58: 807C31FF 00000700
	v_mfma_f32_16x16x32_fp8_fp8 v[100:103], a[140:141], a[108:109], v[100:103]// 000000004C60: D3F30064 1D92D98C
	v_mfma_f32_16x16x32_fp8_fp8 v[100:103], a[142:143], a[110:111], v[100:103]// 000000004C68: D3F30064 1D92DD8E
	buffer_load_dword v69, s[20:23], 0 offen lds               // 000000004C70: E0511000 80050045
	s_add_u32 m0, 0x800, s49                                   // 000000004C78: 807C31FF 00000800
	v_mfma_f32_16x16x32_fp8_fp8 v[104:107], a[136:137], a[112:113], v[104:107]// 000000004C80: D3F30068 1DA2E188
	v_mfma_f32_16x16x32_fp8_fp8 v[104:107], a[138:139], a[114:115], v[104:107]// 000000004C88: D3F30068 1DA2E58A
	v_mfma_f32_16x16x32_fp8_fp8 v[104:107], a[140:141], a[116:117], v[104:107]// 000000004C90: D3F30068 1DA2E98C
	v_mfma_f32_16x16x32_fp8_fp8 v[104:107], a[142:143], a[118:119], v[104:107]// 000000004C98: D3F30068 1DA2ED8E
	v_mfma_f32_16x16x32_fp8_fp8 v[108:111], a[136:137], a[120:121], v[108:111]// 000000004CA0: D3F3006C 1DB2F188
	v_mfma_f32_16x16x32_fp8_fp8 v[108:111], a[138:139], a[122:123], v[108:111]// 000000004CA8: D3F3006C 1DB2F58A
	buffer_load_dword v70, s[20:23], 0 offen lds               // 000000004CB0: E0511000 80050046
	s_add_u32 m0, 0x900, s49                                   // 000000004CB8: 807C31FF 00000900
	v_mfma_f32_16x16x32_fp8_fp8 v[108:111], a[140:141], a[124:125], v[108:111]// 000000004CC0: D3F3006C 1DB2F98C
	v_mfma_f32_16x16x32_fp8_fp8 v[108:111], a[142:143], a[126:127], v[108:111]// 000000004CC8: D3F3006C 1DB2FD8E
	buffer_load_dword v71, s[20:23], 0 offen lds               // 000000004CD0: E0511000 80050047
	s_add_u32 m0, 0xa00, s49                                   // 000000004CD8: 807C31FF 00000A00
	buffer_load_dword v72, s[20:23], 0 offen lds               // 000000004CE0: E0511000 80050048
	s_add_u32 m0, 0xb00, s49                                   // 000000004CE8: 807C31FF 00000B00
	buffer_load_dword v73, s[20:23], 0 offen lds               // 000000004CF0: E0511000 80050049
	s_add_u32 m0, 0xc00, s49                                   // 000000004CF8: 807C31FF 00000C00
	buffer_load_dword v74, s[20:23], 0 offen lds               // 000000004D00: E0511000 8005004A
	s_add_u32 m0, 0xd00, s49                                   // 000000004D08: 807C31FF 00000D00
	buffer_load_dword v75, s[20:23], 0 offen lds               // 000000004D10: E0511000 8005004B
	s_add_u32 m0, 0xe00, s49                                   // 000000004D18: 807C31FF 00000E00
	buffer_load_dword v76, s[20:23], 0 offen lds               // 000000004D20: E0511000 8005004C
	s_add_u32 m0, 0xf00, s49                                   // 000000004D28: 807C31FF 00000F00
	buffer_load_dword v77, s[20:23], 0 offen lds               // 000000004D30: E0511000 8005004D
	s_add_u32 m0, 0, s50                                       // 000000004D38: 807C3280
	s_waitcnt vmcnt(18)                                        // 000000004D3C: BF8C4F72
	s_barrier                                                  // 000000004D40: BF8A0000
	v_mfma_f32_16x16x32_fp8_fp8 v[112:115], a[144:145], a[64:65], v[112:115]// 000000004D44: D3F30070 1DC28190
	v_mfma_f32_16x16x32_fp8_fp8 v[112:115], a[146:147], a[66:67], v[112:115]// 000000004D4C: D3F30070 1DC28592
	buffer_load_dwordx4 a[136:139], v78, s[84:87], 0 offen     // 000000004D54: E05C1000 8095884E
	v_mfma_f32_16x16x32_fp8_fp8 v[112:115], a[148:149], a[68:69], v[112:115]// 000000004D5C: D3F30070 1DC28994
	v_mfma_f32_16x16x32_fp8_fp8 v[112:115], a[150:151], a[70:71], v[112:115]// 000000004D64: D3F30070 1DC28D96
	ds_read_b128 a[0:3], v2                                    // 000000004D6C: DBFE0000 00000002
	ds_read_b128 a[4:7], v2 offset:64                          // 000000004D74: DBFE0040 04000002
	v_mfma_f32_16x16x32_fp8_fp8 v[116:119], a[144:145], a[72:73], v[116:119]// 000000004D7C: D3F30074 1DD29190
	v_mfma_f32_16x16x32_fp8_fp8 v[116:119], a[146:147], a[74:75], v[116:119]// 000000004D84: D3F30074 1DD29592
	buffer_load_dwordx4 a[140:143], v78, s[84:87], 0 offen offset:1024// 000000004D8C: E05C1400 80958C4E
	v_mfma_f32_16x16x32_fp8_fp8 v[116:119], a[148:149], a[76:77], v[116:119]// 000000004D94: D3F30074 1DD29994
	v_mfma_f32_16x16x32_fp8_fp8 v[116:119], a[150:151], a[78:79], v[116:119]// 000000004D9C: D3F30074 1DD29D96
	ds_read_b128 a[8:11], v2 offset:512                        // 000000004DA4: DBFE0200 08000002
	ds_read_b128 a[12:15], v2 offset:576                       // 000000004DAC: DBFE0240 0C000002
	v_mfma_f32_16x16x32_fp8_fp8 v[120:123], a[144:145], a[80:81], v[120:123]// 000000004DB4: D3F30078 1DE2A190
	v_mfma_f32_16x16x32_fp8_fp8 v[120:123], a[146:147], a[82:83], v[120:123]// 000000004DBC: D3F30078 1DE2A592
	v_mfma_f32_16x16x32_fp8_fp8 v[120:123], a[148:149], a[84:85], v[120:123]// 000000004DC4: D3F30078 1DE2A994
	v_mfma_f32_16x16x32_fp8_fp8 v[120:123], a[150:151], a[86:87], v[120:123]// 000000004DCC: D3F30078 1DE2AD96
	ds_read_b128 a[16:19], v2 offset:1024                      // 000000004DD4: DBFE0400 10000002
	ds_read_b128 a[20:23], v2 offset:1088                      // 000000004DDC: DBFE0440 14000002
	v_mfma_f32_16x16x32_fp8_fp8 v[124:127], a[144:145], a[88:89], v[124:127]// 000000004DE4: D3F3007C 1DF2B190
	v_mfma_f32_16x16x32_fp8_fp8 v[124:127], a[146:147], a[90:91], v[124:127]// 000000004DEC: D3F3007C 1DF2B592
	v_mfma_f32_16x16x32_fp8_fp8 v[124:127], a[148:149], a[92:93], v[124:127]// 000000004DF4: D3F3007C 1DF2B994
	v_mfma_f32_16x16x32_fp8_fp8 v[124:127], a[150:151], a[94:95], v[124:127]// 000000004DFC: D3F3007C 1DF2BD96
	ds_read_b128 a[24:27], v2 offset:1536                      // 000000004E04: DBFE0600 18000002
	ds_read_b128 a[28:31], v2 offset:1600                      // 000000004E0C: DBFE0640 1C000002
	v_mfma_f32_16x16x32_fp8_fp8 v[128:131], a[144:145], a[96:97], v[128:131]// 000000004E14: D3F30080 1E02C190
	v_mfma_f32_16x16x32_fp8_fp8 v[128:131], a[146:147], a[98:99], v[128:131]// 000000004E1C: D3F30080 1E02C592
	v_mfma_f32_16x16x32_fp8_fp8 v[128:131], a[148:149], a[100:101], v[128:131]// 000000004E24: D3F30080 1E02C994
	v_mfma_f32_16x16x32_fp8_fp8 v[128:131], a[150:151], a[102:103], v[128:131]// 000000004E2C: D3F30080 1E02CD96
	ds_read_b128 a[32:35], v2 offset:2048                      // 000000004E34: DBFE0800 20000002
	ds_read_b128 a[36:39], v2 offset:2112                      // 000000004E3C: DBFE0840 24000002
	v_mfma_f32_16x16x32_fp8_fp8 v[132:135], a[144:145], a[104:105], v[132:135]// 000000004E44: D3F30084 1E12D190
	v_mfma_f32_16x16x32_fp8_fp8 v[132:135], a[146:147], a[106:107], v[132:135]// 000000004E4C: D3F30084 1E12D592
	v_mfma_f32_16x16x32_fp8_fp8 v[132:135], a[148:149], a[108:109], v[132:135]// 000000004E54: D3F30084 1E12D994
	v_mfma_f32_16x16x32_fp8_fp8 v[132:135], a[150:151], a[110:111], v[132:135]// 000000004E5C: D3F30084 1E12DD96
	ds_read_b128 a[40:43], v2 offset:2560                      // 000000004E64: DBFE0A00 28000002
	ds_read_b128 a[44:47], v2 offset:2624                      // 000000004E6C: DBFE0A40 2C000002
	v_mfma_f32_16x16x32_fp8_fp8 v[136:139], a[144:145], a[112:113], v[136:139]// 000000004E74: D3F30088 1E22E190
	s_add_u32 s60, 0x180, s80                                  // 000000004E7C: 803C50FF 00000180
	s_cmp_lt_u32 s60, s81                                      // 000000004E84: BF0A513C
	s_cselect_b32 s57, s57, 0                                  // 000000004E88: 85398039
	v_mfma_f32_16x16x32_fp8_fp8 v[136:139], a[146:147], a[114:115], v[136:139]// 000000004E8C: D3F30088 1E22E592
	s_add_u32 s60, 0x100, s80                                  // 000000004E94: 803C50FF 00000100
	s_cmp_lt_u32 s60, s81                                      // 000000004E9C: BF0A513C
	s_cselect_b32 s58, s58, 0                                  // 000000004EA0: 853A803A
	v_mfma_f32_16x16x32_fp8_fp8 v[136:139], a[148:149], a[116:117], v[136:139]// 000000004EA4: D3F30088 1E22E994
	s_add_u32 s60, 0x100, s80                                  // 000000004EAC: 803C50FF 00000100
	s_cmp_lt_u32 s60, s81                                      // 000000004EB4: BF0A513C
	s_cselect_b32 s83, s83, 0                                  // 000000004EB8: 85538053
	v_mfma_f32_16x16x32_fp8_fp8 v[136:139], a[150:151], a[118:119], v[136:139]// 000000004EBC: D3F30088 1E22ED96
	ds_read_b128 a[48:51], v2 offset:3072                      // 000000004EC4: DBFE0C00 30000002
	ds_read_b128 a[52:55], v2 offset:3136                      // 000000004ECC: DBFE0C40 34000002
	s_add_u32 s24, s58, s24                                    // 000000004ED4: 8018183A
	s_addc_u32 s25, 0, s25                                     // 000000004ED8: 82191980
	v_mfma_f32_16x16x32_fp8_fp8 v[140:143], a[144:145], a[120:121], v[140:143]// 000000004EDC: D3F3008C 1E32F190
	s_add_u32 s20, s57, s20                                    // 000000004EE4: 80141439
	s_addc_u32 s21, 0, s21                                     // 000000004EE8: 82151580
	v_mfma_f32_16x16x32_fp8_fp8 v[140:143], a[146:147], a[122:123], v[140:143]// 000000004EEC: D3F3008C 1E32F592
	s_add_u32 s84, s83, s84                                    // 000000004EF4: 80545453
	s_addc_u32 s85, 0, s85                                     // 000000004EF8: 82555580
	v_mfma_f32_16x16x32_fp8_fp8 v[140:143], a[148:149], a[124:125], v[140:143]// 000000004EFC: D3F3008C 1E32F994
	v_mfma_f32_16x16x32_fp8_fp8 v[140:143], a[150:151], a[126:127], v[140:143]// 000000004F04: D3F3008C 1E32FD96
	ds_read_b128 a[56:59], v2 offset:3584                      // 000000004F0C: DBFE0E00 38000002
	ds_read_b128 a[60:63], v2 offset:3648                      // 000000004F14: DBFE0E40 3C000002
	s_addk_i32 s80, 0x80                                       // 000000004F1C: B7500080
	s_cmp_lt_i32 s80, s81                                      // 000000004F20: BF045150
	s_cbranch_scc0 label_094B                                  // 000000004F24: BF840001
	s_branch label_0350                                        // 000000004F28: BF82FA05

0000000000004f2c <label_094B>:
	v_mul_f32_dpp v80, v24, v80 row_newbcast:0 row_mask:0xf bank_mask:0xf// 000000004F2C: 0AA0A0FA FF015018
	v_mul_f32_dpp v81, v24, v81 row_newbcast:1 row_mask:0xf bank_mask:0xf// 000000004F34: 0AA2A2FA FF015118
	v_mul_f32_dpp v82, v24, v82 row_newbcast:2 row_mask:0xf bank_mask:0xf// 000000004F3C: 0AA4A4FA FF015218
	v_mul_f32_dpp v83, v24, v83 row_newbcast:3 row_mask:0xf bank_mask:0xf// 000000004F44: 0AA6A6FA FF015318
	v_mul_f32_dpp v84, v24, v84 row_newbcast:0 row_mask:0xf bank_mask:0xf// 000000004F4C: 0AA8A8FA FF015018
	v_mul_f32_dpp v85, v24, v85 row_newbcast:1 row_mask:0xf bank_mask:0xf// 000000004F54: 0AAAAAFA FF015118
	v_mul_f32_dpp v86, v24, v86 row_newbcast:2 row_mask:0xf bank_mask:0xf// 000000004F5C: 0AACACFA FF015218
	v_mul_f32_dpp v87, v24, v87 row_newbcast:3 row_mask:0xf bank_mask:0xf// 000000004F64: 0AAEAEFA FF015318
	v_mul_f32_dpp v88, v24, v88 row_newbcast:0 row_mask:0xf bank_mask:0xf// 000000004F6C: 0AB0B0FA FF015018
	v_mul_f32_dpp v89, v24, v89 row_newbcast:1 row_mask:0xf bank_mask:0xf// 000000004F74: 0AB2B2FA FF015118
	v_mul_f32_dpp v90, v24, v90 row_newbcast:2 row_mask:0xf bank_mask:0xf// 000000004F7C: 0AB4B4FA FF015218
	v_mul_f32_dpp v91, v24, v91 row_newbcast:3 row_mask:0xf bank_mask:0xf// 000000004F84: 0AB6B6FA FF015318
	v_mul_f32_dpp v92, v24, v92 row_newbcast:0 row_mask:0xf bank_mask:0xf// 000000004F8C: 0AB8B8FA FF015018
	v_mul_f32_dpp v93, v24, v93 row_newbcast:1 row_mask:0xf bank_mask:0xf// 000000004F94: 0ABABAFA FF015118
	v_mul_f32_dpp v94, v24, v94 row_newbcast:2 row_mask:0xf bank_mask:0xf// 000000004F9C: 0ABCBCFA FF015218
	v_mul_f32_dpp v95, v24, v95 row_newbcast:3 row_mask:0xf bank_mask:0xf// 000000004FA4: 0ABEBEFA FF015318
	v_mul_f32_dpp v96, v24, v96 row_newbcast:0 row_mask:0xf bank_mask:0xf// 000000004FAC: 0AC0C0FA FF015018
	v_mul_f32_dpp v97, v24, v97 row_newbcast:1 row_mask:0xf bank_mask:0xf// 000000004FB4: 0AC2C2FA FF015118
	v_mul_f32_dpp v98, v24, v98 row_newbcast:2 row_mask:0xf bank_mask:0xf// 000000004FBC: 0AC4C4FA FF015218
	v_mul_f32_dpp v99, v24, v99 row_newbcast:3 row_mask:0xf bank_mask:0xf// 000000004FC4: 0AC6C6FA FF015318
	v_mul_f32_dpp v100, v24, v100 row_newbcast:0 row_mask:0xf bank_mask:0xf// 000000004FCC: 0AC8C8FA FF015018
	v_mul_f32_dpp v101, v24, v101 row_newbcast:1 row_mask:0xf bank_mask:0xf// 000000004FD4: 0ACACAFA FF015118
	v_mul_f32_dpp v102, v24, v102 row_newbcast:2 row_mask:0xf bank_mask:0xf// 000000004FDC: 0ACCCCFA FF015218
	v_mul_f32_dpp v103, v24, v103 row_newbcast:3 row_mask:0xf bank_mask:0xf// 000000004FE4: 0ACECEFA FF015318
	v_mul_f32_dpp v104, v24, v104 row_newbcast:0 row_mask:0xf bank_mask:0xf// 000000004FEC: 0AD0D0FA FF015018
	v_mul_f32_dpp v105, v24, v105 row_newbcast:1 row_mask:0xf bank_mask:0xf// 000000004FF4: 0AD2D2FA FF015118
	v_mul_f32_dpp v106, v24, v106 row_newbcast:2 row_mask:0xf bank_mask:0xf// 000000004FFC: 0AD4D4FA FF015218
	v_mul_f32_dpp v107, v24, v107 row_newbcast:3 row_mask:0xf bank_mask:0xf// 000000005004: 0AD6D6FA FF015318
	v_mul_f32_dpp v108, v24, v108 row_newbcast:0 row_mask:0xf bank_mask:0xf// 00000000500C: 0AD8D8FA FF015018
	v_mul_f32_dpp v109, v24, v109 row_newbcast:1 row_mask:0xf bank_mask:0xf// 000000005014: 0ADADAFA FF015118
	v_mul_f32_dpp v110, v24, v110 row_newbcast:2 row_mask:0xf bank_mask:0xf// 00000000501C: 0ADCDCFA FF015218
	v_mul_f32_dpp v111, v24, v111 row_newbcast:3 row_mask:0xf bank_mask:0xf// 000000005024: 0ADEDEFA FF015318
	v_mul_f32_dpp v112, v27, v112 row_newbcast:0 row_mask:0xf bank_mask:0xf// 00000000502C: 0AE0E0FA FF01501B
	v_mul_f32_dpp v113, v27, v113 row_newbcast:1 row_mask:0xf bank_mask:0xf// 000000005034: 0AE2E2FA FF01511B
	v_mul_f32_dpp v114, v27, v114 row_newbcast:2 row_mask:0xf bank_mask:0xf// 00000000503C: 0AE4E4FA FF01521B
	v_mul_f32_dpp v115, v27, v115 row_newbcast:3 row_mask:0xf bank_mask:0xf// 000000005044: 0AE6E6FA FF01531B
	v_mul_f32_dpp v116, v27, v116 row_newbcast:0 row_mask:0xf bank_mask:0xf// 00000000504C: 0AE8E8FA FF01501B
	v_mul_f32_dpp v117, v27, v117 row_newbcast:1 row_mask:0xf bank_mask:0xf// 000000005054: 0AEAEAFA FF01511B
	v_mul_f32_dpp v118, v27, v118 row_newbcast:2 row_mask:0xf bank_mask:0xf// 00000000505C: 0AECECFA FF01521B
	v_mul_f32_dpp v119, v27, v119 row_newbcast:3 row_mask:0xf bank_mask:0xf// 000000005064: 0AEEEEFA FF01531B
	v_mul_f32_dpp v120, v27, v120 row_newbcast:0 row_mask:0xf bank_mask:0xf// 00000000506C: 0AF0F0FA FF01501B
	v_mul_f32_dpp v121, v27, v121 row_newbcast:1 row_mask:0xf bank_mask:0xf// 000000005074: 0AF2F2FA FF01511B
	v_mul_f32_dpp v122, v27, v122 row_newbcast:2 row_mask:0xf bank_mask:0xf// 00000000507C: 0AF4F4FA FF01521B
	v_mul_f32_dpp v123, v27, v123 row_newbcast:3 row_mask:0xf bank_mask:0xf// 000000005084: 0AF6F6FA FF01531B
	v_mul_f32_dpp v124, v27, v124 row_newbcast:0 row_mask:0xf bank_mask:0xf// 00000000508C: 0AF8F8FA FF01501B
	v_mul_f32_dpp v125, v27, v125 row_newbcast:1 row_mask:0xf bank_mask:0xf// 000000005094: 0AFAFAFA FF01511B
	v_mul_f32_dpp v126, v27, v126 row_newbcast:2 row_mask:0xf bank_mask:0xf// 00000000509C: 0AFCFCFA FF01521B
	v_mul_f32_dpp v127, v27, v127 row_newbcast:3 row_mask:0xf bank_mask:0xf// 0000000050A4: 0AFEFEFA FF01531B
	v_mul_f32_dpp v128, v27, v128 row_newbcast:0 row_mask:0xf bank_mask:0xf// 0000000050AC: 0B0100FA FF01501B
	v_mul_f32_dpp v129, v27, v129 row_newbcast:1 row_mask:0xf bank_mask:0xf// 0000000050B4: 0B0302FA FF01511B
	v_mul_f32_dpp v130, v27, v130 row_newbcast:2 row_mask:0xf bank_mask:0xf// 0000000050BC: 0B0504FA FF01521B
	v_mul_f32_dpp v131, v27, v131 row_newbcast:3 row_mask:0xf bank_mask:0xf// 0000000050C4: 0B0706FA FF01531B
	v_mul_f32_dpp v132, v27, v132 row_newbcast:0 row_mask:0xf bank_mask:0xf// 0000000050CC: 0B0908FA FF01501B
	v_mul_f32_dpp v133, v27, v133 row_newbcast:1 row_mask:0xf bank_mask:0xf// 0000000050D4: 0B0B0AFA FF01511B
	v_mul_f32_dpp v134, v27, v134 row_newbcast:2 row_mask:0xf bank_mask:0xf// 0000000050DC: 0B0D0CFA FF01521B
	v_mul_f32_dpp v135, v27, v135 row_newbcast:3 row_mask:0xf bank_mask:0xf// 0000000050E4: 0B0F0EFA FF01531B
	v_mul_f32_dpp v136, v27, v136 row_newbcast:0 row_mask:0xf bank_mask:0xf// 0000000050EC: 0B1110FA FF01501B
	v_mul_f32_dpp v137, v27, v137 row_newbcast:1 row_mask:0xf bank_mask:0xf// 0000000050F4: 0B1312FA FF01511B
	v_mul_f32_dpp v138, v27, v138 row_newbcast:2 row_mask:0xf bank_mask:0xf// 0000000050FC: 0B1514FA FF01521B
	v_mul_f32_dpp v139, v27, v139 row_newbcast:3 row_mask:0xf bank_mask:0xf// 000000005104: 0B1716FA FF01531B
	v_mul_f32_dpp v140, v27, v140 row_newbcast:0 row_mask:0xf bank_mask:0xf// 00000000510C: 0B1918FA FF01501B
	v_mul_f32_dpp v141, v27, v141 row_newbcast:1 row_mask:0xf bank_mask:0xf// 000000005114: 0B1B1AFA FF01511B
	v_mul_f32_dpp v142, v27, v142 row_newbcast:2 row_mask:0xf bank_mask:0xf// 00000000511C: 0B1D1CFA FF01521B
	v_mul_f32_dpp v143, v27, v143 row_newbcast:3 row_mask:0xf bank_mask:0xf// 000000005124: 0B1F1EFA FF01531B
	v_mov_b32_e32 v4, v38                                      // 00000000512C: 7E080326
	v_mov_b32_e32 v5, v4                                       // 000000005130: 7E0A0304
	v_pk_mul_f32 v[80:81], v[4:5], v[80:81]                    // 000000005134: D3B14050 1802A104
	v_pk_mul_f32 v[112:113], v[4:5], v[112:113]                // 00000000513C: D3B14070 1802E104
	v_pk_mul_f32 v[82:83], v[4:5], v[82:83]                    // 000000005144: D3B14052 1802A504
	v_pk_mul_f32 v[114:115], v[4:5], v[114:115]                // 00000000514C: D3B14072 1802E504
	v_mov_b32_e32 v4, v39                                      // 000000005154: 7E080327
	v_mov_b32_e32 v5, v4                                       // 000000005158: 7E0A0304
	v_pk_mul_f32 v[84:85], v[4:5], v[84:85]                    // 00000000515C: D3B14054 1802A904
	v_pk_mul_f32 v[116:117], v[4:5], v[116:117]                // 000000005164: D3B14074 1802E904
	v_pk_mul_f32 v[86:87], v[4:5], v[86:87]                    // 00000000516C: D3B14056 1802AD04
	v_pk_mul_f32 v[118:119], v[4:5], v[118:119]                // 000000005174: D3B14076 1802ED04
	v_mov_b32_e32 v4, v40                                      // 00000000517C: 7E080328
	v_mov_b32_e32 v5, v4                                       // 000000005180: 7E0A0304
	v_pk_mul_f32 v[88:89], v[4:5], v[88:89]                    // 000000005184: D3B14058 1802B104
	v_pk_mul_f32 v[120:121], v[4:5], v[120:121]                // 00000000518C: D3B14078 1802F104
	v_pk_mul_f32 v[90:91], v[4:5], v[90:91]                    // 000000005194: D3B1405A 1802B504
	v_pk_mul_f32 v[122:123], v[4:5], v[122:123]                // 00000000519C: D3B1407A 1802F504
	v_mov_b32_e32 v4, v41                                      // 0000000051A4: 7E080329
	v_mov_b32_e32 v5, v4                                       // 0000000051A8: 7E0A0304
	v_pk_mul_f32 v[92:93], v[4:5], v[92:93]                    // 0000000051AC: D3B1405C 1802B904
	v_pk_mul_f32 v[124:125], v[4:5], v[124:125]                // 0000000051B4: D3B1407C 1802F904
	v_pk_mul_f32 v[94:95], v[4:5], v[94:95]                    // 0000000051BC: D3B1405E 1802BD04
	v_pk_mul_f32 v[126:127], v[4:5], v[126:127]                // 0000000051C4: D3B1407E 1802FD04
	v_mov_b32_e32 v4, v42                                      // 0000000051CC: 7E08032A
	v_mov_b32_e32 v5, v4                                       // 0000000051D0: 7E0A0304
	v_pk_mul_f32 v[96:97], v[4:5], v[96:97]                    // 0000000051D4: D3B14060 1802C104
	v_pk_mul_f32 v[128:129], v[4:5], v[128:129]                // 0000000051DC: D3B14080 18030104
	v_pk_mul_f32 v[98:99], v[4:5], v[98:99]                    // 0000000051E4: D3B14062 1802C504
	v_pk_mul_f32 v[130:131], v[4:5], v[130:131]                // 0000000051EC: D3B14082 18030504
	v_mov_b32_e32 v4, v43                                      // 0000000051F4: 7E08032B
	v_mov_b32_e32 v5, v4                                       // 0000000051F8: 7E0A0304
	v_pk_mul_f32 v[100:101], v[4:5], v[100:101]                // 0000000051FC: D3B14064 1802C904
	v_pk_mul_f32 v[132:133], v[4:5], v[132:133]                // 000000005204: D3B14084 18030904
	v_pk_mul_f32 v[102:103], v[4:5], v[102:103]                // 00000000520C: D3B14066 1802CD04
	v_pk_mul_f32 v[134:135], v[4:5], v[134:135]                // 000000005214: D3B14086 18030D04
	v_mov_b32_e32 v4, v44                                      // 00000000521C: 7E08032C
	v_mov_b32_e32 v5, v4                                       // 000000005220: 7E0A0304
	v_pk_mul_f32 v[104:105], v[4:5], v[104:105]                // 000000005224: D3B14068 1802D104
	v_pk_mul_f32 v[136:137], v[4:5], v[136:137]                // 00000000522C: D3B14088 18031104
	v_pk_mul_f32 v[106:107], v[4:5], v[106:107]                // 000000005234: D3B1406A 1802D504
	v_pk_mul_f32 v[138:139], v[4:5], v[138:139]                // 00000000523C: D3B1408A 18031504
	v_mov_b32_e32 v4, v45                                      // 000000005244: 7E08032D
	v_mov_b32_e32 v5, v4                                       // 000000005248: 7E0A0304
	v_pk_mul_f32 v[108:109], v[4:5], v[108:109]                // 00000000524C: D3B1406C 1802D904
	v_pk_mul_f32 v[140:141], v[4:5], v[140:141]                // 000000005254: D3B1408C 18031904
	v_pk_mul_f32 v[110:111], v[4:5], v[110:111]                // 00000000525C: D3B1406E 1802DD04
	v_pk_mul_f32 v[142:143], v[4:5], v[142:143]                // 000000005264: D3B1408E 18031D04
	s_cmp_eq_u32 s88, 0                                        // 00000000526C: BF068058
	s_cbranch_scc0 label_100E                                  // 000000005270: BF8405F1
	s_cmp_eq_u32 s89, 0                                        // 000000005274: BF068059
	s_cbranch_scc1 label_0B64                                  // 000000005278: BF850145
	v_mov_b32_e32 v8, v1                                       // 00000000527C: 7E100301
	v_mov_b32_e32 v9, v1                                       // 000000005280: 7E120301
	s_mov_b32 s60, s6                                          // 000000005284: BEBC0006
	s_mov_b32 s61, s6                                          // 000000005288: BEBD0006
	v_pk_mul_f32 v[4:5], v[80:81], v[80:81]                    // 00000000528C: D3B14004 1802A150
	v_pk_mul_f32 v[6:7], v[82:83], v[82:83]                    // 000000005294: D3B14006 1802A552
	v_pk_fma_f32 v[4:5], v[4:5], s[78:79], v[8:9]              // 00000000529C: D3B04004 1C209D04
	v_pk_fma_f32 v[6:7], v[6:7], s[78:79], v[8:9]              // 0000000052A4: D3B04006 1C209D06
	v_pk_mul_f32 v[4:5], v[4:5], v[80:81]                      // 0000000052AC: D3B14004 1802A104
	v_pk_mul_f32 v[6:7], v[6:7], v[82:83]                      // 0000000052B4: D3B14006 1802A506
	v_pk_mul_f32 v[4:5], v[4:5], s[60:61]                      // 0000000052BC: D3B14004 18007904
	v_pk_mul_f32 v[6:7], v[6:7], s[60:61]                      // 0000000052C4: D3B14006 18007906
	v_exp_f32_e32 v4, v4                                       // 0000000052CC: 7E084104
	v_exp_f32_e32 v5, v5                                       // 0000000052D0: 7E0A4105
	v_exp_f32_e32 v6, v6                                       // 0000000052D4: 7E0C4106
	v_exp_f32_e32 v7, v7                                       // 0000000052D8: 7E0E4107
	v_add_f32_e64 v4, v4, 1.0                                  // 0000000052DC: D1010004 0001E504
	v_add_f32_e64 v5, v5, 1.0                                  // 0000000052E4: D1010005 0001E505
	v_add_f32_e64 v6, v6, 1.0                                  // 0000000052EC: D1010006 0001E506
	v_add_f32_e64 v7, v7, 1.0                                  // 0000000052F4: D1010007 0001E507
	v_rcp_f32_e32 v4, v4                                       // 0000000052FC: 7E084504
	v_rcp_f32_e32 v5, v5                                       // 000000005300: 7E0A4505
	v_rcp_f32_e32 v6, v6                                       // 000000005304: 7E0C4506
	v_rcp_f32_e32 v7, v7                                       // 000000005308: 7E0E4507
	v_mul_f32_e32 v80, v80, v4                                 // 00000000530C: 0AA00950
	v_mul_f32_e32 v81, v81, v5                                 // 000000005310: 0AA20B51
	v_mul_f32_e32 v82, v82, v6                                 // 000000005314: 0AA40D52
	v_mul_f32_e32 v83, v83, v7                                 // 000000005318: 0AA60F53
	v_mul_f32_e32 v80, v80, v112                               // 00000000531C: 0AA0E150
	v_mul_f32_e32 v81, v81, v113                               // 000000005320: 0AA2E351
	v_mul_f32_e32 v82, v82, v114                               // 000000005324: 0AA4E552
	v_mul_f32_e32 v83, v83, v115                               // 000000005328: 0AA6E753
	v_pk_mul_f32 v[4:5], v[84:85], v[84:85]                    // 00000000532C: D3B14004 1802A954
	v_pk_mul_f32 v[6:7], v[86:87], v[86:87]                    // 000000005334: D3B14006 1802AD56
	v_pk_fma_f32 v[4:5], v[4:5], s[78:79], v[8:9]              // 00000000533C: D3B04004 1C209D04
	v_pk_fma_f32 v[6:7], v[6:7], s[78:79], v[8:9]              // 000000005344: D3B04006 1C209D06
	v_pk_mul_f32 v[4:5], v[4:5], v[84:85]                      // 00000000534C: D3B14004 1802A904
	v_pk_mul_f32 v[6:7], v[6:7], v[86:87]                      // 000000005354: D3B14006 1802AD06
	v_pk_mul_f32 v[4:5], v[4:5], s[60:61]                      // 00000000535C: D3B14004 18007904
	v_pk_mul_f32 v[6:7], v[6:7], s[60:61]                      // 000000005364: D3B14006 18007906
	v_exp_f32_e32 v4, v4                                       // 00000000536C: 7E084104
	v_exp_f32_e32 v5, v5                                       // 000000005370: 7E0A4105
	v_exp_f32_e32 v6, v6                                       // 000000005374: 7E0C4106
	v_exp_f32_e32 v7, v7                                       // 000000005378: 7E0E4107
	v_add_f32_e64 v4, v4, 1.0                                  // 00000000537C: D1010004 0001E504
	v_add_f32_e64 v5, v5, 1.0                                  // 000000005384: D1010005 0001E505
	v_add_f32_e64 v6, v6, 1.0                                  // 00000000538C: D1010006 0001E506
	v_add_f32_e64 v7, v7, 1.0                                  // 000000005394: D1010007 0001E507
	v_rcp_f32_e32 v4, v4                                       // 00000000539C: 7E084504
	v_rcp_f32_e32 v5, v5                                       // 0000000053A0: 7E0A4505
	v_rcp_f32_e32 v6, v6                                       // 0000000053A4: 7E0C4506
	v_rcp_f32_e32 v7, v7                                       // 0000000053A8: 7E0E4507
	v_mul_f32_e32 v84, v84, v4                                 // 0000000053AC: 0AA80954
	v_mul_f32_e32 v85, v85, v5                                 // 0000000053B0: 0AAA0B55
	v_mul_f32_e32 v86, v86, v6                                 // 0000000053B4: 0AAC0D56
	v_mul_f32_e32 v87, v87, v7                                 // 0000000053B8: 0AAE0F57
	v_mul_f32_e32 v84, v84, v116                               // 0000000053BC: 0AA8E954
	v_mul_f32_e32 v85, v85, v117                               // 0000000053C0: 0AAAEB55
	v_mul_f32_e32 v86, v86, v118                               // 0000000053C4: 0AACED56
	v_mul_f32_e32 v87, v87, v119                               // 0000000053C8: 0AAEEF57
	v_pk_mul_f32 v[4:5], v[88:89], v[88:89]                    // 0000000053CC: D3B14004 1802B158
	v_pk_mul_f32 v[6:7], v[90:91], v[90:91]                    // 0000000053D4: D3B14006 1802B55A
	v_pk_fma_f32 v[4:5], v[4:5], s[78:79], v[8:9]              // 0000000053DC: D3B04004 1C209D04
	v_pk_fma_f32 v[6:7], v[6:7], s[78:79], v[8:9]              // 0000000053E4: D3B04006 1C209D06
	v_pk_mul_f32 v[4:5], v[4:5], v[88:89]                      // 0000000053EC: D3B14004 1802B104
	v_pk_mul_f32 v[6:7], v[6:7], v[90:91]                      // 0000000053F4: D3B14006 1802B506
	v_pk_mul_f32 v[4:5], v[4:5], s[60:61]                      // 0000000053FC: D3B14004 18007904
	v_pk_mul_f32 v[6:7], v[6:7], s[60:61]                      // 000000005404: D3B14006 18007906
	v_exp_f32_e32 v4, v4                                       // 00000000540C: 7E084104
	v_exp_f32_e32 v5, v5                                       // 000000005410: 7E0A4105
	v_exp_f32_e32 v6, v6                                       // 000000005414: 7E0C4106
	v_exp_f32_e32 v7, v7                                       // 000000005418: 7E0E4107
	v_add_f32_e64 v4, v4, 1.0                                  // 00000000541C: D1010004 0001E504
	v_add_f32_e64 v5, v5, 1.0                                  // 000000005424: D1010005 0001E505
	v_add_f32_e64 v6, v6, 1.0                                  // 00000000542C: D1010006 0001E506
	v_add_f32_e64 v7, v7, 1.0                                  // 000000005434: D1010007 0001E507
	v_rcp_f32_e32 v4, v4                                       // 00000000543C: 7E084504
	v_rcp_f32_e32 v5, v5                                       // 000000005440: 7E0A4505
	v_rcp_f32_e32 v6, v6                                       // 000000005444: 7E0C4506
	v_rcp_f32_e32 v7, v7                                       // 000000005448: 7E0E4507
	v_mul_f32_e32 v88, v88, v4                                 // 00000000544C: 0AB00958
	v_mul_f32_e32 v89, v89, v5                                 // 000000005450: 0AB20B59
	v_mul_f32_e32 v90, v90, v6                                 // 000000005454: 0AB40D5A
	v_mul_f32_e32 v91, v91, v7                                 // 000000005458: 0AB60F5B
	v_mul_f32_e32 v88, v88, v120                               // 00000000545C: 0AB0F158
	v_mul_f32_e32 v89, v89, v121                               // 000000005460: 0AB2F359
	v_mul_f32_e32 v90, v90, v122                               // 000000005464: 0AB4F55A
	v_mul_f32_e32 v91, v91, v123                               // 000000005468: 0AB6F75B
	v_pk_mul_f32 v[4:5], v[92:93], v[92:93]                    // 00000000546C: D3B14004 1802B95C
	v_pk_mul_f32 v[6:7], v[94:95], v[94:95]                    // 000000005474: D3B14006 1802BD5E
	v_pk_fma_f32 v[4:5], v[4:5], s[78:79], v[8:9]              // 00000000547C: D3B04004 1C209D04
	v_pk_fma_f32 v[6:7], v[6:7], s[78:79], v[8:9]              // 000000005484: D3B04006 1C209D06
	v_pk_mul_f32 v[4:5], v[4:5], v[92:93]                      // 00000000548C: D3B14004 1802B904
	v_pk_mul_f32 v[6:7], v[6:7], v[94:95]                      // 000000005494: D3B14006 1802BD06
	v_pk_mul_f32 v[4:5], v[4:5], s[60:61]                      // 00000000549C: D3B14004 18007904
	v_pk_mul_f32 v[6:7], v[6:7], s[60:61]                      // 0000000054A4: D3B14006 18007906
	v_exp_f32_e32 v4, v4                                       // 0000000054AC: 7E084104
	v_exp_f32_e32 v5, v5                                       // 0000000054B0: 7E0A4105
	v_exp_f32_e32 v6, v6                                       // 0000000054B4: 7E0C4106
	v_exp_f32_e32 v7, v7                                       // 0000000054B8: 7E0E4107
	v_add_f32_e64 v4, v4, 1.0                                  // 0000000054BC: D1010004 0001E504
	v_add_f32_e64 v5, v5, 1.0                                  // 0000000054C4: D1010005 0001E505
	v_add_f32_e64 v6, v6, 1.0                                  // 0000000054CC: D1010006 0001E506
	v_add_f32_e64 v7, v7, 1.0                                  // 0000000054D4: D1010007 0001E507
	v_rcp_f32_e32 v4, v4                                       // 0000000054DC: 7E084504
	v_rcp_f32_e32 v5, v5                                       // 0000000054E0: 7E0A4505
	v_rcp_f32_e32 v6, v6                                       // 0000000054E4: 7E0C4506
	v_rcp_f32_e32 v7, v7                                       // 0000000054E8: 7E0E4507
	v_mul_f32_e32 v92, v92, v4                                 // 0000000054EC: 0AB8095C
	v_mul_f32_e32 v93, v93, v5                                 // 0000000054F0: 0ABA0B5D
	v_mul_f32_e32 v94, v94, v6                                 // 0000000054F4: 0ABC0D5E
	v_mul_f32_e32 v95, v95, v7                                 // 0000000054F8: 0ABE0F5F
	v_mul_f32_e32 v92, v92, v124                               // 0000000054FC: 0AB8F95C
	v_mul_f32_e32 v93, v93, v125                               // 000000005500: 0ABAFB5D
	v_mul_f32_e32 v94, v94, v126                               // 000000005504: 0ABCFD5E
	v_mul_f32_e32 v95, v95, v127                               // 000000005508: 0ABEFF5F
	v_pk_mul_f32 v[4:5], v[96:97], v[96:97]                    // 00000000550C: D3B14004 1802C160
	v_pk_mul_f32 v[6:7], v[98:99], v[98:99]                    // 000000005514: D3B14006 1802C562
	v_pk_fma_f32 v[4:5], v[4:5], s[78:79], v[8:9]              // 00000000551C: D3B04004 1C209D04
	v_pk_fma_f32 v[6:7], v[6:7], s[78:79], v[8:9]              // 000000005524: D3B04006 1C209D06
	v_pk_mul_f32 v[4:5], v[4:5], v[96:97]                      // 00000000552C: D3B14004 1802C104
	v_pk_mul_f32 v[6:7], v[6:7], v[98:99]                      // 000000005534: D3B14006 1802C506
	v_pk_mul_f32 v[4:5], v[4:5], s[60:61]                      // 00000000553C: D3B14004 18007904
	v_pk_mul_f32 v[6:7], v[6:7], s[60:61]                      // 000000005544: D3B14006 18007906
	v_exp_f32_e32 v4, v4                                       // 00000000554C: 7E084104
	v_exp_f32_e32 v5, v5                                       // 000000005550: 7E0A4105
	v_exp_f32_e32 v6, v6                                       // 000000005554: 7E0C4106
	v_exp_f32_e32 v7, v7                                       // 000000005558: 7E0E4107
	v_add_f32_e64 v4, v4, 1.0                                  // 00000000555C: D1010004 0001E504
	v_add_f32_e64 v5, v5, 1.0                                  // 000000005564: D1010005 0001E505
	v_add_f32_e64 v6, v6, 1.0                                  // 00000000556C: D1010006 0001E506
	v_add_f32_e64 v7, v7, 1.0                                  // 000000005574: D1010007 0001E507
	v_rcp_f32_e32 v4, v4                                       // 00000000557C: 7E084504
	v_rcp_f32_e32 v5, v5                                       // 000000005580: 7E0A4505
	v_rcp_f32_e32 v6, v6                                       // 000000005584: 7E0C4506
	v_rcp_f32_e32 v7, v7                                       // 000000005588: 7E0E4507
	v_mul_f32_e32 v96, v96, v4                                 // 00000000558C: 0AC00960
	v_mul_f32_e32 v97, v97, v5                                 // 000000005590: 0AC20B61
	v_mul_f32_e32 v98, v98, v6                                 // 000000005594: 0AC40D62
	v_mul_f32_e32 v99, v99, v7                                 // 000000005598: 0AC60F63
	v_mul_f32_e32 v96, v96, v128                               // 00000000559C: 0AC10160
	v_mul_f32_e32 v97, v97, v129                               // 0000000055A0: 0AC30361
	v_mul_f32_e32 v98, v98, v130                               // 0000000055A4: 0AC50562
	v_mul_f32_e32 v99, v99, v131                               // 0000000055A8: 0AC70763
	v_pk_mul_f32 v[4:5], v[100:101], v[100:101]                // 0000000055AC: D3B14004 1802C964
	v_pk_mul_f32 v[6:7], v[102:103], v[102:103]                // 0000000055B4: D3B14006 1802CD66
	v_pk_fma_f32 v[4:5], v[4:5], s[78:79], v[8:9]              // 0000000055BC: D3B04004 1C209D04
	v_pk_fma_f32 v[6:7], v[6:7], s[78:79], v[8:9]              // 0000000055C4: D3B04006 1C209D06
	v_pk_mul_f32 v[4:5], v[4:5], v[100:101]                    // 0000000055CC: D3B14004 1802C904
	v_pk_mul_f32 v[6:7], v[6:7], v[102:103]                    // 0000000055D4: D3B14006 1802CD06
	v_pk_mul_f32 v[4:5], v[4:5], s[60:61]                      // 0000000055DC: D3B14004 18007904
	v_pk_mul_f32 v[6:7], v[6:7], s[60:61]                      // 0000000055E4: D3B14006 18007906
	v_exp_f32_e32 v4, v4                                       // 0000000055EC: 7E084104
	v_exp_f32_e32 v5, v5                                       // 0000000055F0: 7E0A4105
	v_exp_f32_e32 v6, v6                                       // 0000000055F4: 7E0C4106
	v_exp_f32_e32 v7, v7                                       // 0000000055F8: 7E0E4107
	v_add_f32_e64 v4, v4, 1.0                                  // 0000000055FC: D1010004 0001E504
	v_add_f32_e64 v5, v5, 1.0                                  // 000000005604: D1010005 0001E505
	v_add_f32_e64 v6, v6, 1.0                                  // 00000000560C: D1010006 0001E506
	v_add_f32_e64 v7, v7, 1.0                                  // 000000005614: D1010007 0001E507
	v_rcp_f32_e32 v4, v4                                       // 00000000561C: 7E084504
	v_rcp_f32_e32 v5, v5                                       // 000000005620: 7E0A4505
	v_rcp_f32_e32 v6, v6                                       // 000000005624: 7E0C4506
	v_rcp_f32_e32 v7, v7                                       // 000000005628: 7E0E4507
	v_mul_f32_e32 v100, v100, v4                               // 00000000562C: 0AC80964
	v_mul_f32_e32 v101, v101, v5                               // 000000005630: 0ACA0B65
	v_mul_f32_e32 v102, v102, v6                               // 000000005634: 0ACC0D66
	v_mul_f32_e32 v103, v103, v7                               // 000000005638: 0ACE0F67
	v_mul_f32_e32 v100, v100, v132                             // 00000000563C: 0AC90964
	v_mul_f32_e32 v101, v101, v133                             // 000000005640: 0ACB0B65
	v_mul_f32_e32 v102, v102, v134                             // 000000005644: 0ACD0D66
	v_mul_f32_e32 v103, v103, v135                             // 000000005648: 0ACF0F67
	v_pk_mul_f32 v[4:5], v[104:105], v[104:105]                // 00000000564C: D3B14004 1802D168
	v_pk_mul_f32 v[6:7], v[106:107], v[106:107]                // 000000005654: D3B14006 1802D56A
	v_pk_fma_f32 v[4:5], v[4:5], s[78:79], v[8:9]              // 00000000565C: D3B04004 1C209D04
	v_pk_fma_f32 v[6:7], v[6:7], s[78:79], v[8:9]              // 000000005664: D3B04006 1C209D06
	v_pk_mul_f32 v[4:5], v[4:5], v[104:105]                    // 00000000566C: D3B14004 1802D104
	v_pk_mul_f32 v[6:7], v[6:7], v[106:107]                    // 000000005674: D3B14006 1802D506
	v_pk_mul_f32 v[4:5], v[4:5], s[60:61]                      // 00000000567C: D3B14004 18007904
	v_pk_mul_f32 v[6:7], v[6:7], s[60:61]                      // 000000005684: D3B14006 18007906
	v_exp_f32_e32 v4, v4                                       // 00000000568C: 7E084104
	v_exp_f32_e32 v5, v5                                       // 000000005690: 7E0A4105
	v_exp_f32_e32 v6, v6                                       // 000000005694: 7E0C4106
	v_exp_f32_e32 v7, v7                                       // 000000005698: 7E0E4107
	v_add_f32_e64 v4, v4, 1.0                                  // 00000000569C: D1010004 0001E504
	v_add_f32_e64 v5, v5, 1.0                                  // 0000000056A4: D1010005 0001E505
	v_add_f32_e64 v6, v6, 1.0                                  // 0000000056AC: D1010006 0001E506
	v_add_f32_e64 v7, v7, 1.0                                  // 0000000056B4: D1010007 0001E507
	v_rcp_f32_e32 v4, v4                                       // 0000000056BC: 7E084504
	v_rcp_f32_e32 v5, v5                                       // 0000000056C0: 7E0A4505
	v_rcp_f32_e32 v6, v6                                       // 0000000056C4: 7E0C4506
	v_rcp_f32_e32 v7, v7                                       // 0000000056C8: 7E0E4507
	v_mul_f32_e32 v104, v104, v4                               // 0000000056CC: 0AD00968
	v_mul_f32_e32 v105, v105, v5                               // 0000000056D0: 0AD20B69
	v_mul_f32_e32 v106, v106, v6                               // 0000000056D4: 0AD40D6A
	v_mul_f32_e32 v107, v107, v7                               // 0000000056D8: 0AD60F6B
	v_mul_f32_e32 v104, v104, v136                             // 0000000056DC: 0AD11168
	v_mul_f32_e32 v105, v105, v137                             // 0000000056E0: 0AD31369
	v_mul_f32_e32 v106, v106, v138                             // 0000000056E4: 0AD5156A
	v_mul_f32_e32 v107, v107, v139                             // 0000000056E8: 0AD7176B
	v_pk_mul_f32 v[4:5], v[108:109], v[108:109]                // 0000000056EC: D3B14004 1802D96C
	v_pk_mul_f32 v[6:7], v[110:111], v[110:111]                // 0000000056F4: D3B14006 1802DD6E
	v_pk_fma_f32 v[4:5], v[4:5], s[78:79], v[8:9]              // 0000000056FC: D3B04004 1C209D04
	v_pk_fma_f32 v[6:7], v[6:7], s[78:79], v[8:9]              // 000000005704: D3B04006 1C209D06
	v_pk_mul_f32 v[4:5], v[4:5], v[108:109]                    // 00000000570C: D3B14004 1802D904
	v_pk_mul_f32 v[6:7], v[6:7], v[110:111]                    // 000000005714: D3B14006 1802DD06
	v_pk_mul_f32 v[4:5], v[4:5], s[60:61]                      // 00000000571C: D3B14004 18007904
	v_pk_mul_f32 v[6:7], v[6:7], s[60:61]                      // 000000005724: D3B14006 18007906
	v_exp_f32_e32 v4, v4                                       // 00000000572C: 7E084104
	v_exp_f32_e32 v5, v5                                       // 000000005730: 7E0A4105
	v_exp_f32_e32 v6, v6                                       // 000000005734: 7E0C4106
	v_exp_f32_e32 v7, v7                                       // 000000005738: 7E0E4107
	v_add_f32_e64 v4, v4, 1.0                                  // 00000000573C: D1010004 0001E504
	v_add_f32_e64 v5, v5, 1.0                                  // 000000005744: D1010005 0001E505
	v_add_f32_e64 v6, v6, 1.0                                  // 00000000574C: D1010006 0001E506
	v_add_f32_e64 v7, v7, 1.0                                  // 000000005754: D1010007 0001E507
	v_rcp_f32_e32 v4, v4                                       // 00000000575C: 7E084504
	v_rcp_f32_e32 v5, v5                                       // 000000005760: 7E0A4505
	v_rcp_f32_e32 v6, v6                                       // 000000005764: 7E0C4506
	v_rcp_f32_e32 v7, v7                                       // 000000005768: 7E0E4507
	v_mul_f32_e32 v108, v108, v4                               // 00000000576C: 0AD8096C
	v_mul_f32_e32 v109, v109, v5                               // 000000005770: 0ADA0B6D
	v_mul_f32_e32 v110, v110, v6                               // 000000005774: 0ADC0D6E
	v_mul_f32_e32 v111, v111, v7                               // 000000005778: 0ADE0F6F
	v_mul_f32_e32 v108, v108, v140                             // 00000000577C: 0AD9196C
	v_mul_f32_e32 v109, v109, v141                             // 000000005780: 0ADB1B6D
	v_mul_f32_e32 v110, v110, v142                             // 000000005784: 0ADD1D6E
	v_mul_f32_e32 v111, v111, v143                             // 000000005788: 0ADF1F6F
	s_branch label_0C64                                        // 00000000578C: BF820100

0000000000005790 <label_0B64>:
	v_mul_f32_e64 v4, -v80, s6                                 // 000000005790: D1050004 20000D50
	v_mul_f32_e64 v5, -v81, s6                                 // 000000005798: D1050005 20000D51
	v_mul_f32_e64 v6, -v82, s6                                 // 0000000057A0: D1050006 20000D52
	v_mul_f32_e64 v7, -v83, s6                                 // 0000000057A8: D1050007 20000D53
	v_exp_f32_e32 v4, v4                                       // 0000000057B0: 7E084104
	v_exp_f32_e32 v5, v5                                       // 0000000057B4: 7E0A4105
	v_exp_f32_e32 v6, v6                                       // 0000000057B8: 7E0C4106
	v_exp_f32_e32 v7, v7                                       // 0000000057BC: 7E0E4107
	v_add_f32_e64 v4, v4, 1.0                                  // 0000000057C0: D1010004 0001E504
	v_add_f32_e64 v5, v5, 1.0                                  // 0000000057C8: D1010005 0001E505
	v_add_f32_e64 v6, v6, 1.0                                  // 0000000057D0: D1010006 0001E506
	v_add_f32_e64 v7, v7, 1.0                                  // 0000000057D8: D1010007 0001E507
	v_rcp_f32_e32 v4, v4                                       // 0000000057E0: 7E084504
	v_rcp_f32_e32 v5, v5                                       // 0000000057E4: 7E0A4505
	v_rcp_f32_e32 v6, v6                                       // 0000000057E8: 7E0C4506
	v_rcp_f32_e32 v7, v7                                       // 0000000057EC: 7E0E4507
	v_mul_f32_e32 v80, v80, v4                                 // 0000000057F0: 0AA00950
	v_mul_f32_e32 v81, v81, v5                                 // 0000000057F4: 0AA20B51
	v_mul_f32_e32 v82, v82, v6                                 // 0000000057F8: 0AA40D52
	v_mul_f32_e32 v83, v83, v7                                 // 0000000057FC: 0AA60F53
	v_mul_f32_e32 v80, v80, v112                               // 000000005800: 0AA0E150
	v_mul_f32_e32 v81, v81, v113                               // 000000005804: 0AA2E351
	v_mul_f32_e32 v82, v82, v114                               // 000000005808: 0AA4E552
	v_mul_f32_e32 v83, v83, v115                               // 00000000580C: 0AA6E753
	v_mul_f32_e64 v4, -v84, s6                                 // 000000005810: D1050004 20000D54
	v_mul_f32_e64 v5, -v85, s6                                 // 000000005818: D1050005 20000D55
	v_mul_f32_e64 v6, -v86, s6                                 // 000000005820: D1050006 20000D56
	v_mul_f32_e64 v7, -v87, s6                                 // 000000005828: D1050007 20000D57
	v_exp_f32_e32 v4, v4                                       // 000000005830: 7E084104
	v_exp_f32_e32 v5, v5                                       // 000000005834: 7E0A4105
	v_exp_f32_e32 v6, v6                                       // 000000005838: 7E0C4106
	v_exp_f32_e32 v7, v7                                       // 00000000583C: 7E0E4107
	v_add_f32_e64 v4, v4, 1.0                                  // 000000005840: D1010004 0001E504
	v_add_f32_e64 v5, v5, 1.0                                  // 000000005848: D1010005 0001E505
	v_add_f32_e64 v6, v6, 1.0                                  // 000000005850: D1010006 0001E506
	v_add_f32_e64 v7, v7, 1.0                                  // 000000005858: D1010007 0001E507
	v_rcp_f32_e32 v4, v4                                       // 000000005860: 7E084504
	v_rcp_f32_e32 v5, v5                                       // 000000005864: 7E0A4505
	v_rcp_f32_e32 v6, v6                                       // 000000005868: 7E0C4506
	v_rcp_f32_e32 v7, v7                                       // 00000000586C: 7E0E4507
	v_mul_f32_e32 v84, v84, v4                                 // 000000005870: 0AA80954
	v_mul_f32_e32 v85, v85, v5                                 // 000000005874: 0AAA0B55
	v_mul_f32_e32 v86, v86, v6                                 // 000000005878: 0AAC0D56
	v_mul_f32_e32 v87, v87, v7                                 // 00000000587C: 0AAE0F57
	v_mul_f32_e32 v84, v84, v116                               // 000000005880: 0AA8E954
	v_mul_f32_e32 v85, v85, v117                               // 000000005884: 0AAAEB55
	v_mul_f32_e32 v86, v86, v118                               // 000000005888: 0AACED56
	v_mul_f32_e32 v87, v87, v119                               // 00000000588C: 0AAEEF57
	v_mul_f32_e64 v4, -v88, s6                                 // 000000005890: D1050004 20000D58
	v_mul_f32_e64 v5, -v89, s6                                 // 000000005898: D1050005 20000D59
	v_mul_f32_e64 v6, -v90, s6                                 // 0000000058A0: D1050006 20000D5A
	v_mul_f32_e64 v7, -v91, s6                                 // 0000000058A8: D1050007 20000D5B
	v_exp_f32_e32 v4, v4                                       // 0000000058B0: 7E084104
	v_exp_f32_e32 v5, v5                                       // 0000000058B4: 7E0A4105
	v_exp_f32_e32 v6, v6                                       // 0000000058B8: 7E0C4106
	v_exp_f32_e32 v7, v7                                       // 0000000058BC: 7E0E4107
	v_add_f32_e64 v4, v4, 1.0                                  // 0000000058C0: D1010004 0001E504
	v_add_f32_e64 v5, v5, 1.0                                  // 0000000058C8: D1010005 0001E505
	v_add_f32_e64 v6, v6, 1.0                                  // 0000000058D0: D1010006 0001E506
	v_add_f32_e64 v7, v7, 1.0                                  // 0000000058D8: D1010007 0001E507
	v_rcp_f32_e32 v4, v4                                       // 0000000058E0: 7E084504
	v_rcp_f32_e32 v5, v5                                       // 0000000058E4: 7E0A4505
	v_rcp_f32_e32 v6, v6                                       // 0000000058E8: 7E0C4506
	v_rcp_f32_e32 v7, v7                                       // 0000000058EC: 7E0E4507
	v_mul_f32_e32 v88, v88, v4                                 // 0000000058F0: 0AB00958
	v_mul_f32_e32 v89, v89, v5                                 // 0000000058F4: 0AB20B59
	v_mul_f32_e32 v90, v90, v6                                 // 0000000058F8: 0AB40D5A
	v_mul_f32_e32 v91, v91, v7                                 // 0000000058FC: 0AB60F5B
	v_mul_f32_e32 v88, v88, v120                               // 000000005900: 0AB0F158
	v_mul_f32_e32 v89, v89, v121                               // 000000005904: 0AB2F359
	v_mul_f32_e32 v90, v90, v122                               // 000000005908: 0AB4F55A
	v_mul_f32_e32 v91, v91, v123                               // 00000000590C: 0AB6F75B
	v_mul_f32_e64 v4, -v92, s6                                 // 000000005910: D1050004 20000D5C
	v_mul_f32_e64 v5, -v93, s6                                 // 000000005918: D1050005 20000D5D
	v_mul_f32_e64 v6, -v94, s6                                 // 000000005920: D1050006 20000D5E
	v_mul_f32_e64 v7, -v95, s6                                 // 000000005928: D1050007 20000D5F
	v_exp_f32_e32 v4, v4                                       // 000000005930: 7E084104
	v_exp_f32_e32 v5, v5                                       // 000000005934: 7E0A4105
	v_exp_f32_e32 v6, v6                                       // 000000005938: 7E0C4106
	v_exp_f32_e32 v7, v7                                       // 00000000593C: 7E0E4107
	v_add_f32_e64 v4, v4, 1.0                                  // 000000005940: D1010004 0001E504
	v_add_f32_e64 v5, v5, 1.0                                  // 000000005948: D1010005 0001E505
	v_add_f32_e64 v6, v6, 1.0                                  // 000000005950: D1010006 0001E506
	v_add_f32_e64 v7, v7, 1.0                                  // 000000005958: D1010007 0001E507
	v_rcp_f32_e32 v4, v4                                       // 000000005960: 7E084504
	v_rcp_f32_e32 v5, v5                                       // 000000005964: 7E0A4505
	v_rcp_f32_e32 v6, v6                                       // 000000005968: 7E0C4506
	v_rcp_f32_e32 v7, v7                                       // 00000000596C: 7E0E4507
	v_mul_f32_e32 v92, v92, v4                                 // 000000005970: 0AB8095C
	v_mul_f32_e32 v93, v93, v5                                 // 000000005974: 0ABA0B5D
	v_mul_f32_e32 v94, v94, v6                                 // 000000005978: 0ABC0D5E
	v_mul_f32_e32 v95, v95, v7                                 // 00000000597C: 0ABE0F5F
	v_mul_f32_e32 v92, v92, v124                               // 000000005980: 0AB8F95C
	v_mul_f32_e32 v93, v93, v125                               // 000000005984: 0ABAFB5D
	v_mul_f32_e32 v94, v94, v126                               // 000000005988: 0ABCFD5E
	v_mul_f32_e32 v95, v95, v127                               // 00000000598C: 0ABEFF5F
	v_mul_f32_e64 v4, -v96, s6                                 // 000000005990: D1050004 20000D60
	v_mul_f32_e64 v5, -v97, s6                                 // 000000005998: D1050005 20000D61
	v_mul_f32_e64 v6, -v98, s6                                 // 0000000059A0: D1050006 20000D62
	v_mul_f32_e64 v7, -v99, s6                                 // 0000000059A8: D1050007 20000D63
	v_exp_f32_e32 v4, v4                                       // 0000000059B0: 7E084104
	v_exp_f32_e32 v5, v5                                       // 0000000059B4: 7E0A4105
	v_exp_f32_e32 v6, v6                                       // 0000000059B8: 7E0C4106
	v_exp_f32_e32 v7, v7                                       // 0000000059BC: 7E0E4107
	v_add_f32_e64 v4, v4, 1.0                                  // 0000000059C0: D1010004 0001E504
	v_add_f32_e64 v5, v5, 1.0                                  // 0000000059C8: D1010005 0001E505
	v_add_f32_e64 v6, v6, 1.0                                  // 0000000059D0: D1010006 0001E506
	v_add_f32_e64 v7, v7, 1.0                                  // 0000000059D8: D1010007 0001E507
	v_rcp_f32_e32 v4, v4                                       // 0000000059E0: 7E084504
	v_rcp_f32_e32 v5, v5                                       // 0000000059E4: 7E0A4505
	v_rcp_f32_e32 v6, v6                                       // 0000000059E8: 7E0C4506
	v_rcp_f32_e32 v7, v7                                       // 0000000059EC: 7E0E4507
	v_mul_f32_e32 v96, v96, v4                                 // 0000000059F0: 0AC00960
	v_mul_f32_e32 v97, v97, v5                                 // 0000000059F4: 0AC20B61
	v_mul_f32_e32 v98, v98, v6                                 // 0000000059F8: 0AC40D62
	v_mul_f32_e32 v99, v99, v7                                 // 0000000059FC: 0AC60F63
	v_mul_f32_e32 v96, v96, v128                               // 000000005A00: 0AC10160
	v_mul_f32_e32 v97, v97, v129                               // 000000005A04: 0AC30361
	v_mul_f32_e32 v98, v98, v130                               // 000000005A08: 0AC50562
	v_mul_f32_e32 v99, v99, v131                               // 000000005A0C: 0AC70763
	v_mul_f32_e64 v4, -v100, s6                                // 000000005A10: D1050004 20000D64
	v_mul_f32_e64 v5, -v101, s6                                // 000000005A18: D1050005 20000D65
	v_mul_f32_e64 v6, -v102, s6                                // 000000005A20: D1050006 20000D66
	v_mul_f32_e64 v7, -v103, s6                                // 000000005A28: D1050007 20000D67
	v_exp_f32_e32 v4, v4                                       // 000000005A30: 7E084104
	v_exp_f32_e32 v5, v5                                       // 000000005A34: 7E0A4105
	v_exp_f32_e32 v6, v6                                       // 000000005A38: 7E0C4106
	v_exp_f32_e32 v7, v7                                       // 000000005A3C: 7E0E4107
	v_add_f32_e64 v4, v4, 1.0                                  // 000000005A40: D1010004 0001E504
	v_add_f32_e64 v5, v5, 1.0                                  // 000000005A48: D1010005 0001E505
	v_add_f32_e64 v6, v6, 1.0                                  // 000000005A50: D1010006 0001E506
	v_add_f32_e64 v7, v7, 1.0                                  // 000000005A58: D1010007 0001E507
	v_rcp_f32_e32 v4, v4                                       // 000000005A60: 7E084504
	v_rcp_f32_e32 v5, v5                                       // 000000005A64: 7E0A4505
	v_rcp_f32_e32 v6, v6                                       // 000000005A68: 7E0C4506
	v_rcp_f32_e32 v7, v7                                       // 000000005A6C: 7E0E4507
	v_mul_f32_e32 v100, v100, v4                               // 000000005A70: 0AC80964
	v_mul_f32_e32 v101, v101, v5                               // 000000005A74: 0ACA0B65
	v_mul_f32_e32 v102, v102, v6                               // 000000005A78: 0ACC0D66
	v_mul_f32_e32 v103, v103, v7                               // 000000005A7C: 0ACE0F67
	v_mul_f32_e32 v100, v100, v132                             // 000000005A80: 0AC90964
	v_mul_f32_e32 v101, v101, v133                             // 000000005A84: 0ACB0B65
	v_mul_f32_e32 v102, v102, v134                             // 000000005A88: 0ACD0D66
	v_mul_f32_e32 v103, v103, v135                             // 000000005A8C: 0ACF0F67
	v_mul_f32_e64 v4, -v104, s6                                // 000000005A90: D1050004 20000D68
	v_mul_f32_e64 v5, -v105, s6                                // 000000005A98: D1050005 20000D69
	v_mul_f32_e64 v6, -v106, s6                                // 000000005AA0: D1050006 20000D6A
	v_mul_f32_e64 v7, -v107, s6                                // 000000005AA8: D1050007 20000D6B
	v_exp_f32_e32 v4, v4                                       // 000000005AB0: 7E084104
	v_exp_f32_e32 v5, v5                                       // 000000005AB4: 7E0A4105
	v_exp_f32_e32 v6, v6                                       // 000000005AB8: 7E0C4106
	v_exp_f32_e32 v7, v7                                       // 000000005ABC: 7E0E4107
	v_add_f32_e64 v4, v4, 1.0                                  // 000000005AC0: D1010004 0001E504
	v_add_f32_e64 v5, v5, 1.0                                  // 000000005AC8: D1010005 0001E505
	v_add_f32_e64 v6, v6, 1.0                                  // 000000005AD0: D1010006 0001E506
	v_add_f32_e64 v7, v7, 1.0                                  // 000000005AD8: D1010007 0001E507
	v_rcp_f32_e32 v4, v4                                       // 000000005AE0: 7E084504
	v_rcp_f32_e32 v5, v5                                       // 000000005AE4: 7E0A4505
	v_rcp_f32_e32 v6, v6                                       // 000000005AE8: 7E0C4506
	v_rcp_f32_e32 v7, v7                                       // 000000005AEC: 7E0E4507
	v_mul_f32_e32 v104, v104, v4                               // 000000005AF0: 0AD00968
	v_mul_f32_e32 v105, v105, v5                               // 000000005AF4: 0AD20B69
	v_mul_f32_e32 v106, v106, v6                               // 000000005AF8: 0AD40D6A
	v_mul_f32_e32 v107, v107, v7                               // 000000005AFC: 0AD60F6B
	v_mul_f32_e32 v104, v104, v136                             // 000000005B00: 0AD11168
	v_mul_f32_e32 v105, v105, v137                             // 000000005B04: 0AD31369
	v_mul_f32_e32 v106, v106, v138                             // 000000005B08: 0AD5156A
	v_mul_f32_e32 v107, v107, v139                             // 000000005B0C: 0AD7176B
	v_mul_f32_e64 v4, -v108, s6                                // 000000005B10: D1050004 20000D6C
	v_mul_f32_e64 v5, -v109, s6                                // 000000005B18: D1050005 20000D6D
	v_mul_f32_e64 v6, -v110, s6                                // 000000005B20: D1050006 20000D6E
	v_mul_f32_e64 v7, -v111, s6                                // 000000005B28: D1050007 20000D6F
	v_exp_f32_e32 v4, v4                                       // 000000005B30: 7E084104
	v_exp_f32_e32 v5, v5                                       // 000000005B34: 7E0A4105
	v_exp_f32_e32 v6, v6                                       // 000000005B38: 7E0C4106
	v_exp_f32_e32 v7, v7                                       // 000000005B3C: 7E0E4107
	v_add_f32_e64 v4, v4, 1.0                                  // 000000005B40: D1010004 0001E504
	v_add_f32_e64 v5, v5, 1.0                                  // 000000005B48: D1010005 0001E505
	v_add_f32_e64 v6, v6, 1.0                                  // 000000005B50: D1010006 0001E506
	v_add_f32_e64 v7, v7, 1.0                                  // 000000005B58: D1010007 0001E507
	v_rcp_f32_e32 v4, v4                                       // 000000005B60: 7E084504
	v_rcp_f32_e32 v5, v5                                       // 000000005B64: 7E0A4505
	v_rcp_f32_e32 v6, v6                                       // 000000005B68: 7E0C4506
	v_rcp_f32_e32 v7, v7                                       // 000000005B6C: 7E0E4507
	v_mul_f32_e32 v108, v108, v4                               // 000000005B70: 0AD8096C
	v_mul_f32_e32 v109, v109, v5                               // 000000005B74: 0ADA0B6D
	v_mul_f32_e32 v110, v110, v6                               // 000000005B78: 0ADC0D6E
	v_mul_f32_e32 v111, v111, v7                               // 000000005B7C: 0ADE0F6F
	v_mul_f32_e32 v108, v108, v140                             // 000000005B80: 0AD9196C
	v_mul_f32_e32 v109, v109, v141                             // 000000005B84: 0ADB1B6D
	v_mul_f32_e32 v110, v110, v142                             // 000000005B88: 0ADD1D6E
	v_mul_f32_e32 v111, v111, v143                             // 000000005B8C: 0ADF1F6F

0000000000005b90 <label_0C64>:
	v_cmp_u_f32_e64 s[46:47], v80, v80                         // 000000005B90: D048002E 0002A150
	v_add3_u32 v16, v80, v19, 1                                // 000000005B98: D1FF0010 02062750
	v_cndmask_b32_e64 v4, v16, v18, s[46:47]                   // 000000005BA0: D1000004 00BA2510
	v_cmp_u_f32_e64 s[46:47], v81, v81                         // 000000005BA8: D048002E 0002A351
	v_add3_u32 v16, v81, v19, 1                                // 000000005BB0: D1FF0010 02062751
	v_cndmask_b32_e64 v5, v16, v18, s[46:47]                   // 000000005BB8: D1000005 00BA2510
	v_perm_b32 v80, v5, v4, s52                                // 000000005BC0: D1ED0050 00D20905
	v_cmp_u_f32_e64 s[46:47], v82, v82                         // 000000005BC8: D048002E 0002A552
	v_add3_u32 v16, v82, v19, 1                                // 000000005BD0: D1FF0010 02062752
	v_cndmask_b32_e64 v4, v16, v18, s[46:47]                   // 000000005BD8: D1000004 00BA2510
	v_cmp_u_f32_e64 s[46:47], v83, v83                         // 000000005BE0: D048002E 0002A753
	v_add3_u32 v16, v83, v19, 1                                // 000000005BE8: D1FF0010 02062753
	v_cndmask_b32_e64 v5, v16, v18, s[46:47]                   // 000000005BF0: D1000005 00BA2510
	v_perm_b32 v81, v5, v4, s52                                // 000000005BF8: D1ED0051 00D20905
	v_cmp_u_f32_e64 s[46:47], v84, v84                         // 000000005C00: D048002E 0002A954
	v_add3_u32 v16, v84, v19, 1                                // 000000005C08: D1FF0010 02062754
	v_cndmask_b32_e64 v4, v16, v18, s[46:47]                   // 000000005C10: D1000004 00BA2510
	v_cmp_u_f32_e64 s[46:47], v85, v85                         // 000000005C18: D048002E 0002AB55
	v_add3_u32 v16, v85, v19, 1                                // 000000005C20: D1FF0010 02062755
	v_cndmask_b32_e64 v5, v16, v18, s[46:47]                   // 000000005C28: D1000005 00BA2510
	v_perm_b32 v82, v5, v4, s52                                // 000000005C30: D1ED0052 00D20905
	v_cmp_u_f32_e64 s[46:47], v86, v86                         // 000000005C38: D048002E 0002AD56
	v_add3_u32 v16, v86, v19, 1                                // 000000005C40: D1FF0010 02062756
	v_cndmask_b32_e64 v4, v16, v18, s[46:47]                   // 000000005C48: D1000004 00BA2510
	v_cmp_u_f32_e64 s[46:47], v87, v87                         // 000000005C50: D048002E 0002AF57
	v_add3_u32 v16, v87, v19, 1                                // 000000005C58: D1FF0010 02062757
	v_cndmask_b32_e64 v5, v16, v18, s[46:47]                   // 000000005C60: D1000005 00BA2510
	v_perm_b32 v83, v5, v4, s52                                // 000000005C68: D1ED0053 00D20905
	v_cmp_u_f32_e64 s[46:47], v88, v88                         // 000000005C70: D048002E 0002B158
	v_add3_u32 v16, v88, v19, 1                                // 000000005C78: D1FF0010 02062758
	v_cndmask_b32_e64 v4, v16, v18, s[46:47]                   // 000000005C80: D1000004 00BA2510
	v_cmp_u_f32_e64 s[46:47], v89, v89                         // 000000005C88: D048002E 0002B359
	v_add3_u32 v16, v89, v19, 1                                // 000000005C90: D1FF0010 02062759
	v_cndmask_b32_e64 v5, v16, v18, s[46:47]                   // 000000005C98: D1000005 00BA2510
	v_perm_b32 v84, v5, v4, s52                                // 000000005CA0: D1ED0054 00D20905
	v_cmp_u_f32_e64 s[46:47], v90, v90                         // 000000005CA8: D048002E 0002B55A
	v_add3_u32 v16, v90, v19, 1                                // 000000005CB0: D1FF0010 0206275A
	v_cndmask_b32_e64 v4, v16, v18, s[46:47]                   // 000000005CB8: D1000004 00BA2510
	v_cmp_u_f32_e64 s[46:47], v91, v91                         // 000000005CC0: D048002E 0002B75B
	v_add3_u32 v16, v91, v19, 1                                // 000000005CC8: D1FF0010 0206275B
	v_cndmask_b32_e64 v5, v16, v18, s[46:47]                   // 000000005CD0: D1000005 00BA2510
	v_perm_b32 v85, v5, v4, s52                                // 000000005CD8: D1ED0055 00D20905
	v_cmp_u_f32_e64 s[46:47], v92, v92                         // 000000005CE0: D048002E 0002B95C
	v_add3_u32 v16, v92, v19, 1                                // 000000005CE8: D1FF0010 0206275C
	v_cndmask_b32_e64 v4, v16, v18, s[46:47]                   // 000000005CF0: D1000004 00BA2510
	v_cmp_u_f32_e64 s[46:47], v93, v93                         // 000000005CF8: D048002E 0002BB5D
	v_add3_u32 v16, v93, v19, 1                                // 000000005D00: D1FF0010 0206275D
	v_cndmask_b32_e64 v5, v16, v18, s[46:47]                   // 000000005D08: D1000005 00BA2510
	v_perm_b32 v86, v5, v4, s52                                // 000000005D10: D1ED0056 00D20905
	v_cmp_u_f32_e64 s[46:47], v94, v94                         // 000000005D18: D048002E 0002BD5E
	v_add3_u32 v16, v94, v19, 1                                // 000000005D20: D1FF0010 0206275E
	v_cndmask_b32_e64 v4, v16, v18, s[46:47]                   // 000000005D28: D1000004 00BA2510
	v_cmp_u_f32_e64 s[46:47], v95, v95                         // 000000005D30: D048002E 0002BF5F
	v_add3_u32 v16, v95, v19, 1                                // 000000005D38: D1FF0010 0206275F
	v_cndmask_b32_e64 v5, v16, v18, s[46:47]                   // 000000005D40: D1000005 00BA2510
	v_perm_b32 v87, v5, v4, s52                                // 000000005D48: D1ED0057 00D20905
	v_cmp_u_f32_e64 s[46:47], v96, v96                         // 000000005D50: D048002E 0002C160
	v_add3_u32 v16, v96, v19, 1                                // 000000005D58: D1FF0010 02062760
	v_cndmask_b32_e64 v4, v16, v18, s[46:47]                   // 000000005D60: D1000004 00BA2510
	v_cmp_u_f32_e64 s[46:47], v97, v97                         // 000000005D68: D048002E 0002C361
	v_add3_u32 v16, v97, v19, 1                                // 000000005D70: D1FF0010 02062761
	v_cndmask_b32_e64 v5, v16, v18, s[46:47]                   // 000000005D78: D1000005 00BA2510
	v_perm_b32 v88, v5, v4, s52                                // 000000005D80: D1ED0058 00D20905
	v_cmp_u_f32_e64 s[46:47], v98, v98                         // 000000005D88: D048002E 0002C562
	v_add3_u32 v16, v98, v19, 1                                // 000000005D90: D1FF0010 02062762
	v_cndmask_b32_e64 v4, v16, v18, s[46:47]                   // 000000005D98: D1000004 00BA2510
	v_cmp_u_f32_e64 s[46:47], v99, v99                         // 000000005DA0: D048002E 0002C763
	v_add3_u32 v16, v99, v19, 1                                // 000000005DA8: D1FF0010 02062763
	v_cndmask_b32_e64 v5, v16, v18, s[46:47]                   // 000000005DB0: D1000005 00BA2510
	v_perm_b32 v89, v5, v4, s52                                // 000000005DB8: D1ED0059 00D20905
	v_cmp_u_f32_e64 s[46:47], v100, v100                       // 000000005DC0: D048002E 0002C964
	v_add3_u32 v16, v100, v19, 1                               // 000000005DC8: D1FF0010 02062764
	v_cndmask_b32_e64 v4, v16, v18, s[46:47]                   // 000000005DD0: D1000004 00BA2510
	v_cmp_u_f32_e64 s[46:47], v101, v101                       // 000000005DD8: D048002E 0002CB65
	v_add3_u32 v16, v101, v19, 1                               // 000000005DE0: D1FF0010 02062765
	v_cndmask_b32_e64 v5, v16, v18, s[46:47]                   // 000000005DE8: D1000005 00BA2510
	v_perm_b32 v90, v5, v4, s52                                // 000000005DF0: D1ED005A 00D20905
	v_cmp_u_f32_e64 s[46:47], v102, v102                       // 000000005DF8: D048002E 0002CD66
	v_add3_u32 v16, v102, v19, 1                               // 000000005E00: D1FF0010 02062766
	v_cndmask_b32_e64 v4, v16, v18, s[46:47]                   // 000000005E08: D1000004 00BA2510
	v_cmp_u_f32_e64 s[46:47], v103, v103                       // 000000005E10: D048002E 0002CF67
	v_add3_u32 v16, v103, v19, 1                               // 000000005E18: D1FF0010 02062767
	v_cndmask_b32_e64 v5, v16, v18, s[46:47]                   // 000000005E20: D1000005 00BA2510
	v_perm_b32 v91, v5, v4, s52                                // 000000005E28: D1ED005B 00D20905
	v_cmp_u_f32_e64 s[46:47], v104, v104                       // 000000005E30: D048002E 0002D168
	v_add3_u32 v16, v104, v19, 1                               // 000000005E38: D1FF0010 02062768
	v_cndmask_b32_e64 v4, v16, v18, s[46:47]                   // 000000005E40: D1000004 00BA2510
	v_cmp_u_f32_e64 s[46:47], v105, v105                       // 000000005E48: D048002E 0002D369
	v_add3_u32 v16, v105, v19, 1                               // 000000005E50: D1FF0010 02062769
	v_cndmask_b32_e64 v5, v16, v18, s[46:47]                   // 000000005E58: D1000005 00BA2510
	v_perm_b32 v92, v5, v4, s52                                // 000000005E60: D1ED005C 00D20905
	v_cmp_u_f32_e64 s[46:47], v106, v106                       // 000000005E68: D048002E 0002D56A
	v_add3_u32 v16, v106, v19, 1                               // 000000005E70: D1FF0010 0206276A
	v_cndmask_b32_e64 v4, v16, v18, s[46:47]                   // 000000005E78: D1000004 00BA2510
	v_cmp_u_f32_e64 s[46:47], v107, v107                       // 000000005E80: D048002E 0002D76B
	v_add3_u32 v16, v107, v19, 1                               // 000000005E88: D1FF0010 0206276B
	v_cndmask_b32_e64 v5, v16, v18, s[46:47]                   // 000000005E90: D1000005 00BA2510
	v_perm_b32 v93, v5, v4, s52                                // 000000005E98: D1ED005D 00D20905
	v_cmp_u_f32_e64 s[46:47], v108, v108                       // 000000005EA0: D048002E 0002D96C
	v_add3_u32 v16, v108, v19, 1                               // 000000005EA8: D1FF0010 0206276C
	v_cndmask_b32_e64 v4, v16, v18, s[46:47]                   // 000000005EB0: D1000004 00BA2510
	v_cmp_u_f32_e64 s[46:47], v109, v109                       // 000000005EB8: D048002E 0002DB6D
	v_add3_u32 v16, v109, v19, 1                               // 000000005EC0: D1FF0010 0206276D
	v_cndmask_b32_e64 v5, v16, v18, s[46:47]                   // 000000005EC8: D1000005 00BA2510
	v_perm_b32 v94, v5, v4, s52                                // 000000005ED0: D1ED005E 00D20905
	v_cmp_u_f32_e64 s[46:47], v110, v110                       // 000000005ED8: D048002E 0002DD6E
	v_add3_u32 v16, v110, v19, 1                               // 000000005EE0: D1FF0010 0206276E
	v_cndmask_b32_e64 v4, v16, v18, s[46:47]                   // 000000005EE8: D1000004 00BA2510
	v_cmp_u_f32_e64 s[46:47], v111, v111                       // 000000005EF0: D048002E 0002DF6F
	v_add3_u32 v16, v111, v19, 1                               // 000000005EF8: D1FF0010 0206276F
	v_cndmask_b32_e64 v5, v16, v18, s[46:47]                   // 000000005F00: D1000005 00BA2510
	v_perm_b32 v95, v5, v4, s52                                // 000000005F08: D1ED005F 00D20905
	ds_write_b64 v20, v[80:81]                                 // 000000005F10: D89A0000 00005014
	ds_write_b64 v20, v[82:83] offset:2176                     // 000000005F18: D89A0880 00005214
	ds_write_b64 v20, v[84:85] offset:4352                     // 000000005F20: D89A1100 00005414
	ds_write_b64 v20, v[86:87] offset:6528                     // 000000005F28: D89A1980 00005614
	ds_write_b64 v20, v[88:89] offset:8704                     // 000000005F30: D89A2200 00005814
	ds_write_b64 v20, v[90:91] offset:10880                    // 000000005F38: D89A2A80 00005A14
	ds_write_b64 v20, v[92:93] offset:13056                    // 000000005F40: D89A3300 00005C14
	ds_write_b64 v20, v[94:95] offset:15232                    // 000000005F48: D89A3B80 00005E14
	v_lshrrev_b32_e32 v4, 5, v0                                // 000000005F50: 20080085
	v_xor_b32_e32 v5, 1, v4                                    // 000000005F54: 2A0A0881
	s_mul_i32 s60, s65, 2                                      // 000000005F58: 923C8241
	s_cmp_eq_u32 s88, 0                                        // 000000005F5C: BF068058
	s_cselect_b32 s61, 1, 4                                    // 000000005F60: 853D8481
	s_mul_i32 s60, s61, s60                                    // 000000005F64: 923C3C3D
	v_readlane_b32 s82, v3, 0                                  // 000000005F68: D2890052 00010103
	s_lshr_b32 s61, s82, 24                                    // 000000005F70: 8F3D9852
	s_and_b32 s82, s82, 0xffffff                               // 000000005F74: 8652FF52 00FFFFFF
	s_mul_i32 s82, s82, s71                                    // 000000005F7C: 92524752
	s_mul_i32 s61, s60, s61                                    // 000000005F80: 923D3D3C
	s_add_u32 s82, s82, s61                                    // 000000005F84: 80523D52
	v_mul_lo_u32 v6, v5, s82                                   // 000000005F88: D2850006 0000A505
	v_readlane_b32 s82, v3, 1                                  // 000000005F90: D2890052 00010303
	s_lshr_b32 s61, s82, 24                                    // 000000005F98: 8F3D9852
	s_and_b32 s82, s82, 0xffffff                               // 000000005F9C: 8652FF52 00FFFFFF
	s_mul_i32 s82, s82, s71                                    // 000000005FA4: 92524752
	s_mul_i32 s61, s60, s61                                    // 000000005FA8: 923D3D3C
	s_add_u32 s82, s82, s61                                    // 000000005FAC: 80523D52
	v_mul_lo_u32 v7, v4, s82                                   // 000000005FB0: D2850007 0000A504
	v_add_u32_e32 v62, v6, v7                                  // 000000005FB8: 687C0F06
	v_readlane_b32 s82, v3, 2                                  // 000000005FBC: D2890052 00010503
	s_lshr_b32 s61, s82, 24                                    // 000000005FC4: 8F3D9852
	s_and_b32 s82, s82, 0xffffff                               // 000000005FC8: 8652FF52 00FFFFFF
	s_mul_i32 s82, s82, s71                                    // 000000005FD0: 92524752
	s_mul_i32 s61, s60, s61                                    // 000000005FD4: 923D3D3C
	s_add_u32 s82, s82, s61                                    // 000000005FD8: 80523D52
	v_mul_lo_u32 v6, v5, s82                                   // 000000005FDC: D2850006 0000A505
	v_readlane_b32 s82, v3, 3                                  // 000000005FE4: D2890052 00010703
	s_lshr_b32 s61, s82, 24                                    // 000000005FEC: 8F3D9852
	s_and_b32 s82, s82, 0xffffff                               // 000000005FF0: 8652FF52 00FFFFFF
	s_mul_i32 s82, s82, s71                                    // 000000005FF8: 92524752
	s_mul_i32 s61, s60, s61                                    // 000000005FFC: 923D3D3C
	s_add_u32 s82, s82, s61                                    // 000000006000: 80523D52
	v_mul_lo_u32 v7, v4, s82                                   // 000000006004: D2850007 0000A504
	v_add_u32_e32 v63, v6, v7                                  // 00000000600C: 687E0F06
	v_readlane_b32 s82, v3, 4                                  // 000000006010: D2890052 00010903
	s_lshr_b32 s61, s82, 24                                    // 000000006018: 8F3D9852
	s_and_b32 s82, s82, 0xffffff                               // 00000000601C: 8652FF52 00FFFFFF
	s_mul_i32 s82, s82, s71                                    // 000000006024: 92524752
	s_mul_i32 s61, s60, s61                                    // 000000006028: 923D3D3C
	s_add_u32 s82, s82, s61                                    // 00000000602C: 80523D52
	v_mul_lo_u32 v6, v5, s82                                   // 000000006030: D2850006 0000A505
	v_readlane_b32 s82, v3, 5                                  // 000000006038: D2890052 00010B03
	s_lshr_b32 s61, s82, 24                                    // 000000006040: 8F3D9852
	s_and_b32 s82, s82, 0xffffff                               // 000000006044: 8652FF52 00FFFFFF
	s_mul_i32 s82, s82, s71                                    // 00000000604C: 92524752
	s_mul_i32 s61, s60, s61                                    // 000000006050: 923D3D3C
	s_add_u32 s82, s82, s61                                    // 000000006054: 80523D52
	v_mul_lo_u32 v7, v4, s82                                   // 000000006058: D2850007 0000A504
	v_add_u32_e32 v64, v6, v7                                  // 000000006060: 68800F06
	v_readlane_b32 s82, v3, 6                                  // 000000006064: D2890052 00010D03
	s_lshr_b32 s61, s82, 24                                    // 00000000606C: 8F3D9852
	s_and_b32 s82, s82, 0xffffff                               // 000000006070: 8652FF52 00FFFFFF
	s_mul_i32 s82, s82, s71                                    // 000000006078: 92524752
	s_mul_i32 s61, s60, s61                                    // 00000000607C: 923D3D3C
	s_add_u32 s82, s82, s61                                    // 000000006080: 80523D52
	v_mul_lo_u32 v6, v5, s82                                   // 000000006084: D2850006 0000A505
	v_readlane_b32 s82, v3, 7                                  // 00000000608C: D2890052 00010F03
	s_lshr_b32 s61, s82, 24                                    // 000000006094: 8F3D9852
	s_and_b32 s82, s82, 0xffffff                               // 000000006098: 8652FF52 00FFFFFF
	s_mul_i32 s82, s82, s71                                    // 0000000060A0: 92524752
	s_mul_i32 s61, s60, s61                                    // 0000000060A4: 923D3D3C
	s_add_u32 s82, s82, s61                                    // 0000000060A8: 80523D52
	v_mul_lo_u32 v7, v4, s82                                   // 0000000060AC: D2850007 0000A504
	v_add_u32_e32 v65, v6, v7                                  // 0000000060B4: 68820F06
	v_readlane_b32 s82, v3, 8                                  // 0000000060B8: D2890052 00011103
	s_lshr_b32 s61, s82, 24                                    // 0000000060C0: 8F3D9852
	s_and_b32 s82, s82, 0xffffff                               // 0000000060C4: 8652FF52 00FFFFFF
	s_mul_i32 s82, s82, s71                                    // 0000000060CC: 92524752
	s_mul_i32 s61, s60, s61                                    // 0000000060D0: 923D3D3C
	s_add_u32 s82, s82, s61                                    // 0000000060D4: 80523D52
	v_mul_lo_u32 v6, v5, s82                                   // 0000000060D8: D2850006 0000A505
	v_readlane_b32 s82, v3, 9                                  // 0000000060E0: D2890052 00011303
	s_lshr_b32 s61, s82, 24                                    // 0000000060E8: 8F3D9852
	s_and_b32 s82, s82, 0xffffff                               // 0000000060EC: 8652FF52 00FFFFFF
	s_mul_i32 s82, s82, s71                                    // 0000000060F4: 92524752
	s_mul_i32 s61, s60, s61                                    // 0000000060F8: 923D3D3C
	s_add_u32 s82, s82, s61                                    // 0000000060FC: 80523D52
	v_mul_lo_u32 v7, v4, s82                                   // 000000006100: D2850007 0000A504
	v_add_u32_e32 v66, v6, v7                                  // 000000006108: 68840F06
	v_readlane_b32 s82, v3, 10                                 // 00000000610C: D2890052 00011503
	s_lshr_b32 s61, s82, 24                                    // 000000006114: 8F3D9852
	s_and_b32 s82, s82, 0xffffff                               // 000000006118: 8652FF52 00FFFFFF
	s_mul_i32 s82, s82, s71                                    // 000000006120: 92524752
	s_mul_i32 s61, s60, s61                                    // 000000006124: 923D3D3C
	s_add_u32 s82, s82, s61                                    // 000000006128: 80523D52
	v_mul_lo_u32 v6, v5, s82                                   // 00000000612C: D2850006 0000A505
	v_readlane_b32 s82, v3, 11                                 // 000000006134: D2890052 00011703
	s_lshr_b32 s61, s82, 24                                    // 00000000613C: 8F3D9852
	s_and_b32 s82, s82, 0xffffff                               // 000000006140: 8652FF52 00FFFFFF
	s_mul_i32 s82, s82, s71                                    // 000000006148: 92524752
	s_mul_i32 s61, s60, s61                                    // 00000000614C: 923D3D3C
	s_add_u32 s82, s82, s61                                    // 000000006150: 80523D52
	v_mul_lo_u32 v7, v4, s82                                   // 000000006154: D2850007 0000A504
	v_add_u32_e32 v67, v6, v7                                  // 00000000615C: 68860F06
	v_readlane_b32 s82, v3, 12                                 // 000000006160: D2890052 00011903
	s_lshr_b32 s61, s82, 24                                    // 000000006168: 8F3D9852
	s_and_b32 s82, s82, 0xffffff                               // 00000000616C: 8652FF52 00FFFFFF
	s_mul_i32 s82, s82, s71                                    // 000000006174: 92524752
	s_mul_i32 s61, s60, s61                                    // 000000006178: 923D3D3C
	s_add_u32 s82, s82, s61                                    // 00000000617C: 80523D52
	v_mul_lo_u32 v6, v5, s82                                   // 000000006180: D2850006 0000A505
	v_readlane_b32 s82, v3, 13                                 // 000000006188: D2890052 00011B03
	s_lshr_b32 s61, s82, 24                                    // 000000006190: 8F3D9852
	s_and_b32 s82, s82, 0xffffff                               // 000000006194: 8652FF52 00FFFFFF
	s_mul_i32 s82, s82, s71                                    // 00000000619C: 92524752
	s_mul_i32 s61, s60, s61                                    // 0000000061A0: 923D3D3C
	s_add_u32 s82, s82, s61                                    // 0000000061A4: 80523D52
	v_mul_lo_u32 v7, v4, s82                                   // 0000000061A8: D2850007 0000A504
	v_add_u32_e32 v68, v6, v7                                  // 0000000061B0: 68880F06
	v_readlane_b32 s82, v3, 14                                 // 0000000061B4: D2890052 00011D03
	s_lshr_b32 s61, s82, 24                                    // 0000000061BC: 8F3D9852
	s_and_b32 s82, s82, 0xffffff                               // 0000000061C0: 8652FF52 00FFFFFF
	s_mul_i32 s82, s82, s71                                    // 0000000061C8: 92524752
	s_mul_i32 s61, s60, s61                                    // 0000000061CC: 923D3D3C
	s_add_u32 s82, s82, s61                                    // 0000000061D0: 80523D52
	v_mul_lo_u32 v6, v5, s82                                   // 0000000061D4: D2850006 0000A505
	v_readlane_b32 s82, v3, 15                                 // 0000000061DC: D2890052 00011F03
	s_lshr_b32 s61, s82, 24                                    // 0000000061E4: 8F3D9852
	s_and_b32 s82, s82, 0xffffff                               // 0000000061E8: 8652FF52 00FFFFFF
	s_mul_i32 s82, s82, s71                                    // 0000000061F0: 92524752
	s_mul_i32 s61, s60, s61                                    // 0000000061F4: 923D3D3C
	s_add_u32 s82, s82, s61                                    // 0000000061F8: 80523D52
	v_mul_lo_u32 v7, v4, s82                                   // 0000000061FC: D2850007 0000A504
	v_add_u32_e32 v69, v6, v7                                  // 000000006204: 688A0F06
	v_readlane_b32 s82, v3, 16                                 // 000000006208: D2890052 00012103
	s_lshr_b32 s61, s82, 24                                    // 000000006210: 8F3D9852
	s_and_b32 s82, s82, 0xffffff                               // 000000006214: 8652FF52 00FFFFFF
	s_mul_i32 s82, s82, s71                                    // 00000000621C: 92524752
	s_mul_i32 s61, s60, s61                                    // 000000006220: 923D3D3C
	s_add_u32 s82, s82, s61                                    // 000000006224: 80523D52
	v_mul_lo_u32 v6, v5, s82                                   // 000000006228: D2850006 0000A505
	v_readlane_b32 s82, v3, 17                                 // 000000006230: D2890052 00012303
	s_lshr_b32 s61, s82, 24                                    // 000000006238: 8F3D9852
	s_and_b32 s82, s82, 0xffffff                               // 00000000623C: 8652FF52 00FFFFFF
	s_mul_i32 s82, s82, s71                                    // 000000006244: 92524752
	s_mul_i32 s61, s60, s61                                    // 000000006248: 923D3D3C
	s_add_u32 s82, s82, s61                                    // 00000000624C: 80523D52
	v_mul_lo_u32 v7, v4, s82                                   // 000000006250: D2850007 0000A504
	v_add_u32_e32 v70, v6, v7                                  // 000000006258: 688C0F06
	v_readlane_b32 s82, v3, 18                                 // 00000000625C: D2890052 00012503
	s_lshr_b32 s61, s82, 24                                    // 000000006264: 8F3D9852
	s_and_b32 s82, s82, 0xffffff                               // 000000006268: 8652FF52 00FFFFFF
	s_mul_i32 s82, s82, s71                                    // 000000006270: 92524752
	s_mul_i32 s61, s60, s61                                    // 000000006274: 923D3D3C
	s_add_u32 s82, s82, s61                                    // 000000006278: 80523D52
	v_mul_lo_u32 v6, v5, s82                                   // 00000000627C: D2850006 0000A505
	v_readlane_b32 s82, v3, 19                                 // 000000006284: D2890052 00012703
	s_lshr_b32 s61, s82, 24                                    // 00000000628C: 8F3D9852
	s_and_b32 s82, s82, 0xffffff                               // 000000006290: 8652FF52 00FFFFFF
	s_mul_i32 s82, s82, s71                                    // 000000006298: 92524752
	s_mul_i32 s61, s60, s61                                    // 00000000629C: 923D3D3C
	s_add_u32 s82, s82, s61                                    // 0000000062A0: 80523D52
	v_mul_lo_u32 v7, v4, s82                                   // 0000000062A4: D2850007 0000A504
	v_add_u32_e32 v71, v6, v7                                  // 0000000062AC: 688E0F06
	v_readlane_b32 s82, v3, 20                                 // 0000000062B0: D2890052 00012903
	s_lshr_b32 s61, s82, 24                                    // 0000000062B8: 8F3D9852
	s_and_b32 s82, s82, 0xffffff                               // 0000000062BC: 8652FF52 00FFFFFF
	s_mul_i32 s82, s82, s71                                    // 0000000062C4: 92524752
	s_mul_i32 s61, s60, s61                                    // 0000000062C8: 923D3D3C
	s_add_u32 s82, s82, s61                                    // 0000000062CC: 80523D52
	v_mul_lo_u32 v6, v5, s82                                   // 0000000062D0: D2850006 0000A505
	v_readlane_b32 s82, v3, 21                                 // 0000000062D8: D2890052 00012B03
	s_lshr_b32 s61, s82, 24                                    // 0000000062E0: 8F3D9852
	s_and_b32 s82, s82, 0xffffff                               // 0000000062E4: 8652FF52 00FFFFFF
	s_mul_i32 s82, s82, s71                                    // 0000000062EC: 92524752
	s_mul_i32 s61, s60, s61                                    // 0000000062F0: 923D3D3C
	s_add_u32 s82, s82, s61                                    // 0000000062F4: 80523D52
	v_mul_lo_u32 v7, v4, s82                                   // 0000000062F8: D2850007 0000A504
	v_add_u32_e32 v72, v6, v7                                  // 000000006300: 68900F06
	v_readlane_b32 s82, v3, 22                                 // 000000006304: D2890052 00012D03
	s_lshr_b32 s61, s82, 24                                    // 00000000630C: 8F3D9852
	s_and_b32 s82, s82, 0xffffff                               // 000000006310: 8652FF52 00FFFFFF
	s_mul_i32 s82, s82, s71                                    // 000000006318: 92524752
	s_mul_i32 s61, s60, s61                                    // 00000000631C: 923D3D3C
	s_add_u32 s82, s82, s61                                    // 000000006320: 80523D52
	v_mul_lo_u32 v6, v5, s82                                   // 000000006324: D2850006 0000A505
	v_readlane_b32 s82, v3, 23                                 // 00000000632C: D2890052 00012F03
	s_lshr_b32 s61, s82, 24                                    // 000000006334: 8F3D9852
	s_and_b32 s82, s82, 0xffffff                               // 000000006338: 8652FF52 00FFFFFF
	s_mul_i32 s82, s82, s71                                    // 000000006340: 92524752
	s_mul_i32 s61, s60, s61                                    // 000000006344: 923D3D3C
	s_add_u32 s82, s82, s61                                    // 000000006348: 80523D52
	v_mul_lo_u32 v7, v4, s82                                   // 00000000634C: D2850007 0000A504
	v_add_u32_e32 v73, v6, v7                                  // 000000006354: 68920F06
	v_readlane_b32 s82, v3, 24                                 // 000000006358: D2890052 00013103
	s_lshr_b32 s61, s82, 24                                    // 000000006360: 8F3D9852
	s_and_b32 s82, s82, 0xffffff                               // 000000006364: 8652FF52 00FFFFFF
	s_mul_i32 s82, s82, s71                                    // 00000000636C: 92524752
	s_mul_i32 s61, s60, s61                                    // 000000006370: 923D3D3C
	s_add_u32 s82, s82, s61                                    // 000000006374: 80523D52
	v_mul_lo_u32 v6, v5, s82                                   // 000000006378: D2850006 0000A505
	v_readlane_b32 s82, v3, 25                                 // 000000006380: D2890052 00013303
	s_lshr_b32 s61, s82, 24                                    // 000000006388: 8F3D9852
	s_and_b32 s82, s82, 0xffffff                               // 00000000638C: 8652FF52 00FFFFFF
	s_mul_i32 s82, s82, s71                                    // 000000006394: 92524752
	s_mul_i32 s61, s60, s61                                    // 000000006398: 923D3D3C
	s_add_u32 s82, s82, s61                                    // 00000000639C: 80523D52
	v_mul_lo_u32 v7, v4, s82                                   // 0000000063A0: D2850007 0000A504
	v_add_u32_e32 v74, v6, v7                                  // 0000000063A8: 68940F06
	v_readlane_b32 s82, v3, 26                                 // 0000000063AC: D2890052 00013503
	s_lshr_b32 s61, s82, 24                                    // 0000000063B4: 8F3D9852
	s_and_b32 s82, s82, 0xffffff                               // 0000000063B8: 8652FF52 00FFFFFF
	s_mul_i32 s82, s82, s71                                    // 0000000063C0: 92524752
	s_mul_i32 s61, s60, s61                                    // 0000000063C4: 923D3D3C
	s_add_u32 s82, s82, s61                                    // 0000000063C8: 80523D52
	v_mul_lo_u32 v6, v5, s82                                   // 0000000063CC: D2850006 0000A505
	v_readlane_b32 s82, v3, 27                                 // 0000000063D4: D2890052 00013703
	s_lshr_b32 s61, s82, 24                                    // 0000000063DC: 8F3D9852
	s_and_b32 s82, s82, 0xffffff                               // 0000000063E0: 8652FF52 00FFFFFF
	s_mul_i32 s82, s82, s71                                    // 0000000063E8: 92524752
	s_mul_i32 s61, s60, s61                                    // 0000000063EC: 923D3D3C
	s_add_u32 s82, s82, s61                                    // 0000000063F0: 80523D52
	v_mul_lo_u32 v7, v4, s82                                   // 0000000063F4: D2850007 0000A504
	v_add_u32_e32 v75, v6, v7                                  // 0000000063FC: 68960F06
	v_readlane_b32 s82, v3, 28                                 // 000000006400: D2890052 00013903
	s_lshr_b32 s61, s82, 24                                    // 000000006408: 8F3D9852
	s_and_b32 s82, s82, 0xffffff                               // 00000000640C: 8652FF52 00FFFFFF
	s_mul_i32 s82, s82, s71                                    // 000000006414: 92524752
	s_mul_i32 s61, s60, s61                                    // 000000006418: 923D3D3C
	s_add_u32 s82, s82, s61                                    // 00000000641C: 80523D52
	v_mul_lo_u32 v6, v5, s82                                   // 000000006420: D2850006 0000A505
	v_readlane_b32 s82, v3, 29                                 // 000000006428: D2890052 00013B03
	s_lshr_b32 s61, s82, 24                                    // 000000006430: 8F3D9852
	s_and_b32 s82, s82, 0xffffff                               // 000000006434: 8652FF52 00FFFFFF
	s_mul_i32 s82, s82, s71                                    // 00000000643C: 92524752
	s_mul_i32 s61, s60, s61                                    // 000000006440: 923D3D3C
	s_add_u32 s82, s82, s61                                    // 000000006444: 80523D52
	v_mul_lo_u32 v7, v4, s82                                   // 000000006448: D2850007 0000A504
	v_add_u32_e32 v76, v6, v7                                  // 000000006450: 68980F06
	v_readlane_b32 s82, v3, 30                                 // 000000006454: D2890052 00013D03
	s_lshr_b32 s61, s82, 24                                    // 00000000645C: 8F3D9852
	s_and_b32 s82, s82, 0xffffff                               // 000000006460: 8652FF52 00FFFFFF
	s_mul_i32 s82, s82, s71                                    // 000000006468: 92524752
	s_mul_i32 s61, s60, s61                                    // 00000000646C: 923D3D3C
	s_add_u32 s82, s82, s61                                    // 000000006470: 80523D52
	v_mul_lo_u32 v6, v5, s82                                   // 000000006474: D2850006 0000A505
	v_readlane_b32 s82, v3, 31                                 // 00000000647C: D2890052 00013F03
	s_lshr_b32 s61, s82, 24                                    // 000000006484: 8F3D9852
	s_and_b32 s82, s82, 0xffffff                               // 000000006488: 8652FF52 00FFFFFF
	s_mul_i32 s82, s82, s71                                    // 000000006490: 92524752
	s_mul_i32 s61, s60, s61                                    // 000000006494: 923D3D3C
	s_add_u32 s82, s82, s61                                    // 000000006498: 80523D52
	v_mul_lo_u32 v7, v4, s82                                   // 00000000649C: D2850007 0000A504
	v_add_u32_e32 v77, v6, v7                                  // 0000000064A4: 689A0F06
	v_and_b32_e32 v4, 31, v0                                   // 0000000064A8: 2608009F
	v_lshrrev_b32_e32 v4, 1, v4                                // 0000000064AC: 20080881
	s_cmp_eq_u32 s88, 0                                        // 0000000064B0: BF068058
	s_cselect_b32 s61, 2, 4                                    // 0000000064B4: 853D8482
	v_mul_lo_u32 v4, v4, s61                                   // 0000000064B8: D2850004 00007B04
	v_and_b32_e64 v5, v0, 1                                    // 0000000064C0: D1130005 00010300
	v_add_u32_e32 v4, v4, v5                                   // 0000000064C8: 68080B04
	v_lshlrev_b32_e32 v4, 2, v4                                // 0000000064CC: 24080882
	v_add_u32_e32 v62, v62, v4                                 // 0000000064D0: 687C093E
	v_add_u32_e32 v63, v63, v4                                 // 0000000064D4: 687E093F
	v_add_u32_e32 v64, v64, v4                                 // 0000000064D8: 68800940
	v_add_u32_e32 v65, v65, v4                                 // 0000000064DC: 68820941
	v_add_u32_e32 v66, v66, v4                                 // 0000000064E0: 68840942
	v_add_u32_e32 v67, v67, v4                                 // 0000000064E4: 68860943
	v_add_u32_e32 v68, v68, v4                                 // 0000000064E8: 68880944
	v_add_u32_e32 v69, v69, v4                                 // 0000000064EC: 688A0945
	v_add_u32_e32 v70, v70, v4                                 // 0000000064F0: 688C0946
	v_add_u32_e32 v71, v71, v4                                 // 0000000064F4: 688E0947
	v_add_u32_e32 v72, v72, v4                                 // 0000000064F8: 68900948
	v_add_u32_e32 v73, v73, v4                                 // 0000000064FC: 68920949
	v_add_u32_e32 v74, v74, v4                                 // 000000006500: 6894094A
	v_add_u32_e32 v75, v75, v4                                 // 000000006504: 6896094B
	v_add_u32_e32 v76, v76, v4                                 // 000000006508: 6898094C
	v_add_u32_e32 v77, v77, v4                                 // 00000000650C: 689A094D
	s_waitcnt lgkmcnt(0)                                       // 000000006510: BF8CC07F
	s_barrier                                                  // 000000006514: BF8A0000
	ds_read_b32 v80, v21                                       // 000000006518: D86C0000 50000015
	ds_read_b32 v81, v21 offset:64                             // 000000006520: D86C0040 51000015
	ds_read_b32 v82, v21 offset:2176                           // 000000006528: D86C0880 52000015
	ds_read_b32 v83, v21 offset:2240                           // 000000006530: D86C08C0 53000015
	ds_read_b32 v84, v21 offset:4352                           // 000000006538: D86C1100 54000015
	ds_read_b32 v85, v21 offset:4416                           // 000000006540: D86C1140 55000015
	ds_read_b32 v86, v21 offset:6528                           // 000000006548: D86C1980 56000015
	ds_read_b32 v87, v21 offset:6592                           // 000000006550: D86C19C0 57000015
	ds_read_b32 v88, v21 offset:8704                           // 000000006558: D86C2200 58000015
	ds_read_b32 v89, v21 offset:8768                           // 000000006560: D86C2240 59000015
	ds_read_b32 v90, v21 offset:10880                          // 000000006568: D86C2A80 5A000015
	ds_read_b32 v91, v21 offset:10944                          // 000000006570: D86C2AC0 5B000015
	ds_read_b32 v92, v21 offset:13056                          // 000000006578: D86C3300 5C000015
	ds_read_b32 v93, v21 offset:13120                          // 000000006580: D86C3340 5D000015
	ds_read_b32 v94, v21 offset:15232                          // 000000006588: D86C3B80 5E000015
	ds_read_b32 v95, v21 offset:15296                          // 000000006590: D86C3BC0 5F000015
	s_waitcnt lgkmcnt(0)                                       // 000000006598: BF8CC07F
	s_mov_b32 s36, -1                                          // 00000000659C: BEA400C1
	s_mov_b32 s37, -1                                          // 0000000065A0: BEA500C1
	v_mov_b32_e32 v7, 0                                        // 0000000065A4: 7E0E0280
	s_or_b32 s9, s9, 0x40000                                   // 0000000065A8: 8709FF09 00040000
	s_mov_b64 exec, s[36:37]                                   // 0000000065B0: BEFE0124
	v_mov_b32_e32 v6, v62                                      // 0000000065B4: 7E0C033E
	s_mov_b64 s[60:61], 0                                      // 0000000065B8: BEBC0180
	v_readlane_b32 s82, v3, 0                                  // 0000000065BC: D2890052 00010103
	s_and_b32 s82, s82, 0xffffff                               // 0000000065C4: 8652FF52 00FFFFFF
	s_cmp_lt_u32 s82, s66                                      // 0000000065CC: BF0A4252
	s_cselect_b32 s20, s36, s60                                // 0000000065D0: 85143C24
	v_readlane_b32 s82, v3, 1                                  // 0000000065D4: D2890052 00010303
	s_and_b32 s82, s82, 0xffffff                               // 0000000065DC: 8652FF52 00FFFFFF
	s_cmp_lt_u32 s82, s66                                      // 0000000065E4: BF0A4252
	s_cselect_b32 s21, s36, s60                                // 0000000065E8: 85153C24
	s_mov_b64 exec, s[20:21]                                   // 0000000065EC: BEFE0114
	buffer_store_dword v80, v6, s[8:11], 0 offen               // 0000000065F0: E0701000 80025006
	s_mov_b64 exec, s[36:37]                                   // 0000000065F8: BEFE0124
	v_mov_b32_e32 v6, v63                                      // 0000000065FC: 7E0C033F
	s_mov_b64 s[60:61], 0                                      // 000000006600: BEBC0180
	v_readlane_b32 s82, v3, 2                                  // 000000006604: D2890052 00010503
	s_and_b32 s82, s82, 0xffffff                               // 00000000660C: 8652FF52 00FFFFFF
	s_cmp_lt_u32 s82, s66                                      // 000000006614: BF0A4252
	s_cselect_b32 s20, s36, s60                                // 000000006618: 85143C24
	v_readlane_b32 s82, v3, 3                                  // 00000000661C: D2890052 00010703
	s_and_b32 s82, s82, 0xffffff                               // 000000006624: 8652FF52 00FFFFFF
	s_cmp_lt_u32 s82, s66                                      // 00000000662C: BF0A4252
	s_cselect_b32 s21, s36, s60                                // 000000006630: 85153C24
	s_mov_b64 exec, s[20:21]                                   // 000000006634: BEFE0114
	buffer_store_dword v81, v6, s[8:11], 0 offen               // 000000006638: E0701000 80025106
	s_mov_b64 exec, s[36:37]                                   // 000000006640: BEFE0124
	v_mov_b32_e32 v6, v64                                      // 000000006644: 7E0C0340
	s_mov_b64 s[60:61], 0                                      // 000000006648: BEBC0180
	v_readlane_b32 s82, v3, 4                                  // 00000000664C: D2890052 00010903
	s_and_b32 s82, s82, 0xffffff                               // 000000006654: 8652FF52 00FFFFFF
	s_cmp_lt_u32 s82, s66                                      // 00000000665C: BF0A4252
	s_cselect_b32 s20, s36, s60                                // 000000006660: 85143C24
	v_readlane_b32 s82, v3, 5                                  // 000000006664: D2890052 00010B03
	s_and_b32 s82, s82, 0xffffff                               // 00000000666C: 8652FF52 00FFFFFF
	s_cmp_lt_u32 s82, s66                                      // 000000006674: BF0A4252
	s_cselect_b32 s21, s36, s60                                // 000000006678: 85153C24
	s_mov_b64 exec, s[20:21]                                   // 00000000667C: BEFE0114
	buffer_store_dword v82, v6, s[8:11], 0 offen               // 000000006680: E0701000 80025206
	s_mov_b64 exec, s[36:37]                                   // 000000006688: BEFE0124
	v_mov_b32_e32 v6, v65                                      // 00000000668C: 7E0C0341
	s_mov_b64 s[60:61], 0                                      // 000000006690: BEBC0180
	v_readlane_b32 s82, v3, 6                                  // 000000006694: D2890052 00010D03
	s_and_b32 s82, s82, 0xffffff                               // 00000000669C: 8652FF52 00FFFFFF
	s_cmp_lt_u32 s82, s66                                      // 0000000066A4: BF0A4252
	s_cselect_b32 s20, s36, s60                                // 0000000066A8: 85143C24
	v_readlane_b32 s82, v3, 7                                  // 0000000066AC: D2890052 00010F03
	s_and_b32 s82, s82, 0xffffff                               // 0000000066B4: 8652FF52 00FFFFFF
	s_cmp_lt_u32 s82, s66                                      // 0000000066BC: BF0A4252
	s_cselect_b32 s21, s36, s60                                // 0000000066C0: 85153C24
	s_mov_b64 exec, s[20:21]                                   // 0000000066C4: BEFE0114
	buffer_store_dword v83, v6, s[8:11], 0 offen               // 0000000066C8: E0701000 80025306
	s_mov_b64 exec, s[36:37]                                   // 0000000066D0: BEFE0124
	v_mov_b32_e32 v6, v66                                      // 0000000066D4: 7E0C0342
	s_mov_b64 s[60:61], 0                                      // 0000000066D8: BEBC0180
	v_readlane_b32 s82, v3, 8                                  // 0000000066DC: D2890052 00011103
	s_and_b32 s82, s82, 0xffffff                               // 0000000066E4: 8652FF52 00FFFFFF
	s_cmp_lt_u32 s82, s66                                      // 0000000066EC: BF0A4252
	s_cselect_b32 s20, s36, s60                                // 0000000066F0: 85143C24
	v_readlane_b32 s82, v3, 9                                  // 0000000066F4: D2890052 00011303
	s_and_b32 s82, s82, 0xffffff                               // 0000000066FC: 8652FF52 00FFFFFF
	s_cmp_lt_u32 s82, s66                                      // 000000006704: BF0A4252
	s_cselect_b32 s21, s36, s60                                // 000000006708: 85153C24
	s_mov_b64 exec, s[20:21]                                   // 00000000670C: BEFE0114
	buffer_store_dword v84, v6, s[8:11], 0 offen               // 000000006710: E0701000 80025406
	s_mov_b64 exec, s[36:37]                                   // 000000006718: BEFE0124
	v_mov_b32_e32 v6, v67                                      // 00000000671C: 7E0C0343
	s_mov_b64 s[60:61], 0                                      // 000000006720: BEBC0180
	v_readlane_b32 s82, v3, 10                                 // 000000006724: D2890052 00011503
	s_and_b32 s82, s82, 0xffffff                               // 00000000672C: 8652FF52 00FFFFFF
	s_cmp_lt_u32 s82, s66                                      // 000000006734: BF0A4252
	s_cselect_b32 s20, s36, s60                                // 000000006738: 85143C24
	v_readlane_b32 s82, v3, 11                                 // 00000000673C: D2890052 00011703
	s_and_b32 s82, s82, 0xffffff                               // 000000006744: 8652FF52 00FFFFFF
	s_cmp_lt_u32 s82, s66                                      // 00000000674C: BF0A4252
	s_cselect_b32 s21, s36, s60                                // 000000006750: 85153C24
	s_mov_b64 exec, s[20:21]                                   // 000000006754: BEFE0114
	buffer_store_dword v85, v6, s[8:11], 0 offen               // 000000006758: E0701000 80025506
	s_mov_b64 exec, s[36:37]                                   // 000000006760: BEFE0124
	v_mov_b32_e32 v6, v68                                      // 000000006764: 7E0C0344
	s_mov_b64 s[60:61], 0                                      // 000000006768: BEBC0180
	v_readlane_b32 s82, v3, 12                                 // 00000000676C: D2890052 00011903
	s_and_b32 s82, s82, 0xffffff                               // 000000006774: 8652FF52 00FFFFFF
	s_cmp_lt_u32 s82, s66                                      // 00000000677C: BF0A4252
	s_cselect_b32 s20, s36, s60                                // 000000006780: 85143C24
	v_readlane_b32 s82, v3, 13                                 // 000000006784: D2890052 00011B03
	s_and_b32 s82, s82, 0xffffff                               // 00000000678C: 8652FF52 00FFFFFF
	s_cmp_lt_u32 s82, s66                                      // 000000006794: BF0A4252
	s_cselect_b32 s21, s36, s60                                // 000000006798: 85153C24
	s_mov_b64 exec, s[20:21]                                   // 00000000679C: BEFE0114
	buffer_store_dword v86, v6, s[8:11], 0 offen               // 0000000067A0: E0701000 80025606
	s_mov_b64 exec, s[36:37]                                   // 0000000067A8: BEFE0124
	v_mov_b32_e32 v6, v69                                      // 0000000067AC: 7E0C0345
	s_mov_b64 s[60:61], 0                                      // 0000000067B0: BEBC0180
	v_readlane_b32 s82, v3, 14                                 // 0000000067B4: D2890052 00011D03
	s_and_b32 s82, s82, 0xffffff                               // 0000000067BC: 8652FF52 00FFFFFF
	s_cmp_lt_u32 s82, s66                                      // 0000000067C4: BF0A4252
	s_cselect_b32 s20, s36, s60                                // 0000000067C8: 85143C24
	v_readlane_b32 s82, v3, 15                                 // 0000000067CC: D2890052 00011F03
	s_and_b32 s82, s82, 0xffffff                               // 0000000067D4: 8652FF52 00FFFFFF
	s_cmp_lt_u32 s82, s66                                      // 0000000067DC: BF0A4252
	s_cselect_b32 s21, s36, s60                                // 0000000067E0: 85153C24
	s_mov_b64 exec, s[20:21]                                   // 0000000067E4: BEFE0114
	buffer_store_dword v87, v6, s[8:11], 0 offen               // 0000000067E8: E0701000 80025706
	s_mov_b64 exec, s[36:37]                                   // 0000000067F0: BEFE0124
	v_mov_b32_e32 v6, v70                                      // 0000000067F4: 7E0C0346
	s_mov_b64 s[60:61], 0                                      // 0000000067F8: BEBC0180
	v_readlane_b32 s82, v3, 16                                 // 0000000067FC: D2890052 00012103
	s_and_b32 s82, s82, 0xffffff                               // 000000006804: 8652FF52 00FFFFFF
	s_cmp_lt_u32 s82, s66                                      // 00000000680C: BF0A4252
	s_cselect_b32 s20, s36, s60                                // 000000006810: 85143C24
	v_readlane_b32 s82, v3, 17                                 // 000000006814: D2890052 00012303
	s_and_b32 s82, s82, 0xffffff                               // 00000000681C: 8652FF52 00FFFFFF
	s_cmp_lt_u32 s82, s66                                      // 000000006824: BF0A4252
	s_cselect_b32 s21, s36, s60                                // 000000006828: 85153C24
	s_mov_b64 exec, s[20:21]                                   // 00000000682C: BEFE0114
	buffer_store_dword v88, v6, s[8:11], 0 offen               // 000000006830: E0701000 80025806
	s_mov_b64 exec, s[36:37]                                   // 000000006838: BEFE0124
	v_mov_b32_e32 v6, v71                                      // 00000000683C: 7E0C0347
	s_mov_b64 s[60:61], 0                                      // 000000006840: BEBC0180
	v_readlane_b32 s82, v3, 18                                 // 000000006844: D2890052 00012503
	s_and_b32 s82, s82, 0xffffff                               // 00000000684C: 8652FF52 00FFFFFF
	s_cmp_lt_u32 s82, s66                                      // 000000006854: BF0A4252
	s_cselect_b32 s20, s36, s60                                // 000000006858: 85143C24
	v_readlane_b32 s82, v3, 19                                 // 00000000685C: D2890052 00012703
	s_and_b32 s82, s82, 0xffffff                               // 000000006864: 8652FF52 00FFFFFF
	s_cmp_lt_u32 s82, s66                                      // 00000000686C: BF0A4252
	s_cselect_b32 s21, s36, s60                                // 000000006870: 85153C24
	s_mov_b64 exec, s[20:21]                                   // 000000006874: BEFE0114
	buffer_store_dword v89, v6, s[8:11], 0 offen               // 000000006878: E0701000 80025906
	s_mov_b64 exec, s[36:37]                                   // 000000006880: BEFE0124
	v_mov_b32_e32 v6, v72                                      // 000000006884: 7E0C0348
	s_mov_b64 s[60:61], 0                                      // 000000006888: BEBC0180
	v_readlane_b32 s82, v3, 20                                 // 00000000688C: D2890052 00012903
	s_and_b32 s82, s82, 0xffffff                               // 000000006894: 8652FF52 00FFFFFF
	s_cmp_lt_u32 s82, s66                                      // 00000000689C: BF0A4252
	s_cselect_b32 s20, s36, s60                                // 0000000068A0: 85143C24
	v_readlane_b32 s82, v3, 21                                 // 0000000068A4: D2890052 00012B03
	s_and_b32 s82, s82, 0xffffff                               // 0000000068AC: 8652FF52 00FFFFFF
	s_cmp_lt_u32 s82, s66                                      // 0000000068B4: BF0A4252
	s_cselect_b32 s21, s36, s60                                // 0000000068B8: 85153C24
	s_mov_b64 exec, s[20:21]                                   // 0000000068BC: BEFE0114
	buffer_store_dword v90, v6, s[8:11], 0 offen               // 0000000068C0: E0701000 80025A06
	s_mov_b64 exec, s[36:37]                                   // 0000000068C8: BEFE0124
	v_mov_b32_e32 v6, v73                                      // 0000000068CC: 7E0C0349
	s_mov_b64 s[60:61], 0                                      // 0000000068D0: BEBC0180
	v_readlane_b32 s82, v3, 22                                 // 0000000068D4: D2890052 00012D03
	s_and_b32 s82, s82, 0xffffff                               // 0000000068DC: 8652FF52 00FFFFFF
	s_cmp_lt_u32 s82, s66                                      // 0000000068E4: BF0A4252
	s_cselect_b32 s20, s36, s60                                // 0000000068E8: 85143C24
	v_readlane_b32 s82, v3, 23                                 // 0000000068EC: D2890052 00012F03
	s_and_b32 s82, s82, 0xffffff                               // 0000000068F4: 8652FF52 00FFFFFF
	s_cmp_lt_u32 s82, s66                                      // 0000000068FC: BF0A4252
	s_cselect_b32 s21, s36, s60                                // 000000006900: 85153C24
	s_mov_b64 exec, s[20:21]                                   // 000000006904: BEFE0114
	buffer_store_dword v91, v6, s[8:11], 0 offen               // 000000006908: E0701000 80025B06
	s_mov_b64 exec, s[36:37]                                   // 000000006910: BEFE0124
	v_mov_b32_e32 v6, v74                                      // 000000006914: 7E0C034A
	s_mov_b64 s[60:61], 0                                      // 000000006918: BEBC0180
	v_readlane_b32 s82, v3, 24                                 // 00000000691C: D2890052 00013103
	s_and_b32 s82, s82, 0xffffff                               // 000000006924: 8652FF52 00FFFFFF
	s_cmp_lt_u32 s82, s66                                      // 00000000692C: BF0A4252
	s_cselect_b32 s20, s36, s60                                // 000000006930: 85143C24
	v_readlane_b32 s82, v3, 25                                 // 000000006934: D2890052 00013303
	s_and_b32 s82, s82, 0xffffff                               // 00000000693C: 8652FF52 00FFFFFF
	s_cmp_lt_u32 s82, s66                                      // 000000006944: BF0A4252
	s_cselect_b32 s21, s36, s60                                // 000000006948: 85153C24
	s_mov_b64 exec, s[20:21]                                   // 00000000694C: BEFE0114
	buffer_store_dword v92, v6, s[8:11], 0 offen               // 000000006950: E0701000 80025C06
	s_mov_b64 exec, s[36:37]                                   // 000000006958: BEFE0124
	v_mov_b32_e32 v6, v75                                      // 00000000695C: 7E0C034B
	s_mov_b64 s[60:61], 0                                      // 000000006960: BEBC0180
	v_readlane_b32 s82, v3, 26                                 // 000000006964: D2890052 00013503
	s_and_b32 s82, s82, 0xffffff                               // 00000000696C: 8652FF52 00FFFFFF
	s_cmp_lt_u32 s82, s66                                      // 000000006974: BF0A4252
	s_cselect_b32 s20, s36, s60                                // 000000006978: 85143C24
	v_readlane_b32 s82, v3, 27                                 // 00000000697C: D2890052 00013703
	s_and_b32 s82, s82, 0xffffff                               // 000000006984: 8652FF52 00FFFFFF
	s_cmp_lt_u32 s82, s66                                      // 00000000698C: BF0A4252
	s_cselect_b32 s21, s36, s60                                // 000000006990: 85153C24
	s_mov_b64 exec, s[20:21]                                   // 000000006994: BEFE0114
	buffer_store_dword v93, v6, s[8:11], 0 offen               // 000000006998: E0701000 80025D06
	s_mov_b64 exec, s[36:37]                                   // 0000000069A0: BEFE0124
	v_mov_b32_e32 v6, v76                                      // 0000000069A4: 7E0C034C
	s_mov_b64 s[60:61], 0                                      // 0000000069A8: BEBC0180
	v_readlane_b32 s82, v3, 28                                 // 0000000069AC: D2890052 00013903
	s_and_b32 s82, s82, 0xffffff                               // 0000000069B4: 8652FF52 00FFFFFF
	s_cmp_lt_u32 s82, s66                                      // 0000000069BC: BF0A4252
	s_cselect_b32 s20, s36, s60                                // 0000000069C0: 85143C24
	v_readlane_b32 s82, v3, 29                                 // 0000000069C4: D2890052 00013B03
	s_and_b32 s82, s82, 0xffffff                               // 0000000069CC: 8652FF52 00FFFFFF
	s_cmp_lt_u32 s82, s66                                      // 0000000069D4: BF0A4252
	s_cselect_b32 s21, s36, s60                                // 0000000069D8: 85153C24
	s_mov_b64 exec, s[20:21]                                   // 0000000069DC: BEFE0114
	buffer_store_dword v94, v6, s[8:11], 0 offen               // 0000000069E0: E0701000 80025E06
	s_mov_b64 exec, s[36:37]                                   // 0000000069E8: BEFE0124
	v_mov_b32_e32 v6, v77                                      // 0000000069EC: 7E0C034D
	s_mov_b64 s[60:61], 0                                      // 0000000069F0: BEBC0180
	v_readlane_b32 s82, v3, 30                                 // 0000000069F4: D2890052 00013D03
	s_and_b32 s82, s82, 0xffffff                               // 0000000069FC: 8652FF52 00FFFFFF
	s_cmp_lt_u32 s82, s66                                      // 000000006A04: BF0A4252
	s_cselect_b32 s20, s36, s60                                // 000000006A08: 85143C24
	v_readlane_b32 s82, v3, 31                                 // 000000006A0C: D2890052 00013F03
	s_and_b32 s82, s82, 0xffffff                               // 000000006A14: 8652FF52 00FFFFFF
	s_cmp_lt_u32 s82, s66                                      // 000000006A1C: BF0A4252
	s_cselect_b32 s21, s36, s60                                // 000000006A20: 85153C24
	s_mov_b64 exec, s[20:21]                                   // 000000006A24: BEFE0114
	buffer_store_dword v95, v6, s[8:11], 0 offen               // 000000006A28: E0701000 80025F06
	s_mov_b64 exec, s[36:37]                                   // 000000006A30: BEFE0124
	s_branch label_2A63                                        // 000000006A34: BF821A52

0000000000006a38 <label_100E>:
	ds_write_b64 v20, v[80:81]                                 // 000000006A38: D89A0000 00005014
	ds_write_b64 v20, v[84:85] offset:2176                     // 000000006A40: D89A0880 00005414
	ds_write_b64 v20, v[88:89] offset:4352                     // 000000006A48: D89A1100 00005814
	ds_write_b64 v20, v[92:93] offset:6528                     // 000000006A50: D89A1980 00005C14
	ds_write_b64 v20, v[96:97] offset:8704                     // 000000006A58: D89A2200 00006014
	ds_write_b64 v20, v[100:101] offset:10880                  // 000000006A60: D89A2A80 00006414
	ds_write_b64 v20, v[104:105] offset:13056                  // 000000006A68: D89A3300 00006814
	ds_write_b64 v20, v[108:109] offset:15232                  // 000000006A70: D89A3B80 00006C14
	v_lshrrev_b32_e32 v4, 5, v0                                // 000000006A78: 20080085
	v_xor_b32_e32 v5, 1, v4                                    // 000000006A7C: 2A0A0881
	s_mul_i32 s60, s65, 2                                      // 000000006A80: 923C8241
	s_cmp_eq_u32 s88, 0                                        // 000000006A84: BF068058
	s_cselect_b32 s61, 1, 4                                    // 000000006A88: 853D8481
	s_mul_i32 s60, s61, s60                                    // 000000006A8C: 923C3C3D
	v_readlane_b32 s82, v3, 0                                  // 000000006A90: D2890052 00010103
	s_lshr_b32 s61, s82, 24                                    // 000000006A98: 8F3D9852
	s_and_b32 s82, s82, 0xffffff                               // 000000006A9C: 8652FF52 00FFFFFF
	s_mul_i32 s82, s82, s71                                    // 000000006AA4: 92524752
	s_mul_i32 s61, s60, s61                                    // 000000006AA8: 923D3D3C
	s_add_u32 s82, s82, s61                                    // 000000006AAC: 80523D52
	v_mul_lo_u32 v6, v5, s82                                   // 000000006AB0: D2850006 0000A505
	v_readlane_b32 s82, v3, 1                                  // 000000006AB8: D2890052 00010303
	s_lshr_b32 s61, s82, 24                                    // 000000006AC0: 8F3D9852
	s_and_b32 s82, s82, 0xffffff                               // 000000006AC4: 8652FF52 00FFFFFF
	s_mul_i32 s82, s82, s71                                    // 000000006ACC: 92524752
	s_mul_i32 s61, s60, s61                                    // 000000006AD0: 923D3D3C
	s_add_u32 s82, s82, s61                                    // 000000006AD4: 80523D52
	v_mul_lo_u32 v7, v4, s82                                   // 000000006AD8: D2850007 0000A504
	v_add_u32_e32 v62, v6, v7                                  // 000000006AE0: 687C0F06
	v_readlane_b32 s82, v3, 2                                  // 000000006AE4: D2890052 00010503
	s_lshr_b32 s61, s82, 24                                    // 000000006AEC: 8F3D9852
	s_and_b32 s82, s82, 0xffffff                               // 000000006AF0: 8652FF52 00FFFFFF
	s_mul_i32 s82, s82, s71                                    // 000000006AF8: 92524752
	s_mul_i32 s61, s60, s61                                    // 000000006AFC: 923D3D3C
	s_add_u32 s82, s82, s61                                    // 000000006B00: 80523D52
	v_mul_lo_u32 v6, v5, s82                                   // 000000006B04: D2850006 0000A505
	v_readlane_b32 s82, v3, 3                                  // 000000006B0C: D2890052 00010703
	s_lshr_b32 s61, s82, 24                                    // 000000006B14: 8F3D9852
	s_and_b32 s82, s82, 0xffffff                               // 000000006B18: 8652FF52 00FFFFFF
	s_mul_i32 s82, s82, s71                                    // 000000006B20: 92524752
	s_mul_i32 s61, s60, s61                                    // 000000006B24: 923D3D3C
	s_add_u32 s82, s82, s61                                    // 000000006B28: 80523D52
	v_mul_lo_u32 v7, v4, s82                                   // 000000006B2C: D2850007 0000A504
	v_add_u32_e32 v63, v6, v7                                  // 000000006B34: 687E0F06
	v_readlane_b32 s82, v3, 4                                  // 000000006B38: D2890052 00010903
	s_lshr_b32 s61, s82, 24                                    // 000000006B40: 8F3D9852
	s_and_b32 s82, s82, 0xffffff                               // 000000006B44: 8652FF52 00FFFFFF
	s_mul_i32 s82, s82, s71                                    // 000000006B4C: 92524752
	s_mul_i32 s61, s60, s61                                    // 000000006B50: 923D3D3C
	s_add_u32 s82, s82, s61                                    // 000000006B54: 80523D52
	v_mul_lo_u32 v6, v5, s82                                   // 000000006B58: D2850006 0000A505
	v_readlane_b32 s82, v3, 5                                  // 000000006B60: D2890052 00010B03
	s_lshr_b32 s61, s82, 24                                    // 000000006B68: 8F3D9852
	s_and_b32 s82, s82, 0xffffff                               // 000000006B6C: 8652FF52 00FFFFFF
	s_mul_i32 s82, s82, s71                                    // 000000006B74: 92524752
	s_mul_i32 s61, s60, s61                                    // 000000006B78: 923D3D3C
	s_add_u32 s82, s82, s61                                    // 000000006B7C: 80523D52
	v_mul_lo_u32 v7, v4, s82                                   // 000000006B80: D2850007 0000A504
	v_add_u32_e32 v64, v6, v7                                  // 000000006B88: 68800F06
	v_readlane_b32 s82, v3, 6                                  // 000000006B8C: D2890052 00010D03
	s_lshr_b32 s61, s82, 24                                    // 000000006B94: 8F3D9852
	s_and_b32 s82, s82, 0xffffff                               // 000000006B98: 8652FF52 00FFFFFF
	s_mul_i32 s82, s82, s71                                    // 000000006BA0: 92524752
	s_mul_i32 s61, s60, s61                                    // 000000006BA4: 923D3D3C
	s_add_u32 s82, s82, s61                                    // 000000006BA8: 80523D52
	v_mul_lo_u32 v6, v5, s82                                   // 000000006BAC: D2850006 0000A505
	v_readlane_b32 s82, v3, 7                                  // 000000006BB4: D2890052 00010F03
	s_lshr_b32 s61, s82, 24                                    // 000000006BBC: 8F3D9852
	s_and_b32 s82, s82, 0xffffff                               // 000000006BC0: 8652FF52 00FFFFFF
	s_mul_i32 s82, s82, s71                                    // 000000006BC8: 92524752
	s_mul_i32 s61, s60, s61                                    // 000000006BCC: 923D3D3C
	s_add_u32 s82, s82, s61                                    // 000000006BD0: 80523D52
	v_mul_lo_u32 v7, v4, s82                                   // 000000006BD4: D2850007 0000A504
	v_add_u32_e32 v65, v6, v7                                  // 000000006BDC: 68820F06
	v_readlane_b32 s82, v3, 8                                  // 000000006BE0: D2890052 00011103
	s_lshr_b32 s61, s82, 24                                    // 000000006BE8: 8F3D9852
	s_and_b32 s82, s82, 0xffffff                               // 000000006BEC: 8652FF52 00FFFFFF
	s_mul_i32 s82, s82, s71                                    // 000000006BF4: 92524752
	s_mul_i32 s61, s60, s61                                    // 000000006BF8: 923D3D3C
	s_add_u32 s82, s82, s61                                    // 000000006BFC: 80523D52
	v_mul_lo_u32 v6, v5, s82                                   // 000000006C00: D2850006 0000A505
	v_readlane_b32 s82, v3, 9                                  // 000000006C08: D2890052 00011303
	s_lshr_b32 s61, s82, 24                                    // 000000006C10: 8F3D9852
	s_and_b32 s82, s82, 0xffffff                               // 000000006C14: 8652FF52 00FFFFFF
	s_mul_i32 s82, s82, s71                                    // 000000006C1C: 92524752
	s_mul_i32 s61, s60, s61                                    // 000000006C20: 923D3D3C
	s_add_u32 s82, s82, s61                                    // 000000006C24: 80523D52
	v_mul_lo_u32 v7, v4, s82                                   // 000000006C28: D2850007 0000A504
	v_add_u32_e32 v66, v6, v7                                  // 000000006C30: 68840F06
	v_readlane_b32 s82, v3, 10                                 // 000000006C34: D2890052 00011503
	s_lshr_b32 s61, s82, 24                                    // 000000006C3C: 8F3D9852
	s_and_b32 s82, s82, 0xffffff                               // 000000006C40: 8652FF52 00FFFFFF
	s_mul_i32 s82, s82, s71                                    // 000000006C48: 92524752
	s_mul_i32 s61, s60, s61                                    // 000000006C4C: 923D3D3C
	s_add_u32 s82, s82, s61                                    // 000000006C50: 80523D52
	v_mul_lo_u32 v6, v5, s82                                   // 000000006C54: D2850006 0000A505
	v_readlane_b32 s82, v3, 11                                 // 000000006C5C: D2890052 00011703
	s_lshr_b32 s61, s82, 24                                    // 000000006C64: 8F3D9852
	s_and_b32 s82, s82, 0xffffff                               // 000000006C68: 8652FF52 00FFFFFF
	s_mul_i32 s82, s82, s71                                    // 000000006C70: 92524752
	s_mul_i32 s61, s60, s61                                    // 000000006C74: 923D3D3C
	s_add_u32 s82, s82, s61                                    // 000000006C78: 80523D52
	v_mul_lo_u32 v7, v4, s82                                   // 000000006C7C: D2850007 0000A504
	v_add_u32_e32 v67, v6, v7                                  // 000000006C84: 68860F06
	v_readlane_b32 s82, v3, 12                                 // 000000006C88: D2890052 00011903
	s_lshr_b32 s61, s82, 24                                    // 000000006C90: 8F3D9852
	s_and_b32 s82, s82, 0xffffff                               // 000000006C94: 8652FF52 00FFFFFF
	s_mul_i32 s82, s82, s71                                    // 000000006C9C: 92524752
	s_mul_i32 s61, s60, s61                                    // 000000006CA0: 923D3D3C
	s_add_u32 s82, s82, s61                                    // 000000006CA4: 80523D52
	v_mul_lo_u32 v6, v5, s82                                   // 000000006CA8: D2850006 0000A505
	v_readlane_b32 s82, v3, 13                                 // 000000006CB0: D2890052 00011B03
	s_lshr_b32 s61, s82, 24                                    // 000000006CB8: 8F3D9852
	s_and_b32 s82, s82, 0xffffff                               // 000000006CBC: 8652FF52 00FFFFFF
	s_mul_i32 s82, s82, s71                                    // 000000006CC4: 92524752
	s_mul_i32 s61, s60, s61                                    // 000000006CC8: 923D3D3C
	s_add_u32 s82, s82, s61                                    // 000000006CCC: 80523D52
	v_mul_lo_u32 v7, v4, s82                                   // 000000006CD0: D2850007 0000A504
	v_add_u32_e32 v68, v6, v7                                  // 000000006CD8: 68880F06
	v_readlane_b32 s82, v3, 14                                 // 000000006CDC: D2890052 00011D03
	s_lshr_b32 s61, s82, 24                                    // 000000006CE4: 8F3D9852
	s_and_b32 s82, s82, 0xffffff                               // 000000006CE8: 8652FF52 00FFFFFF
	s_mul_i32 s82, s82, s71                                    // 000000006CF0: 92524752
	s_mul_i32 s61, s60, s61                                    // 000000006CF4: 923D3D3C
	s_add_u32 s82, s82, s61                                    // 000000006CF8: 80523D52
	v_mul_lo_u32 v6, v5, s82                                   // 000000006CFC: D2850006 0000A505
	v_readlane_b32 s82, v3, 15                                 // 000000006D04: D2890052 00011F03
	s_lshr_b32 s61, s82, 24                                    // 000000006D0C: 8F3D9852
	s_and_b32 s82, s82, 0xffffff                               // 000000006D10: 8652FF52 00FFFFFF
	s_mul_i32 s82, s82, s71                                    // 000000006D18: 92524752
	s_mul_i32 s61, s60, s61                                    // 000000006D1C: 923D3D3C
	s_add_u32 s82, s82, s61                                    // 000000006D20: 80523D52
	v_mul_lo_u32 v7, v4, s82                                   // 000000006D24: D2850007 0000A504
	v_add_u32_e32 v69, v6, v7                                  // 000000006D2C: 688A0F06
	v_readlane_b32 s82, v3, 16                                 // 000000006D30: D2890052 00012103
	s_lshr_b32 s61, s82, 24                                    // 000000006D38: 8F3D9852
	s_and_b32 s82, s82, 0xffffff                               // 000000006D3C: 8652FF52 00FFFFFF
	s_mul_i32 s82, s82, s71                                    // 000000006D44: 92524752
	s_mul_i32 s61, s60, s61                                    // 000000006D48: 923D3D3C
	s_add_u32 s82, s82, s61                                    // 000000006D4C: 80523D52
	v_mul_lo_u32 v6, v5, s82                                   // 000000006D50: D2850006 0000A505
	v_readlane_b32 s82, v3, 17                                 // 000000006D58: D2890052 00012303
	s_lshr_b32 s61, s82, 24                                    // 000000006D60: 8F3D9852
	s_and_b32 s82, s82, 0xffffff                               // 000000006D64: 8652FF52 00FFFFFF
	s_mul_i32 s82, s82, s71                                    // 000000006D6C: 92524752
	s_mul_i32 s61, s60, s61                                    // 000000006D70: 923D3D3C
	s_add_u32 s82, s82, s61                                    // 000000006D74: 80523D52
	v_mul_lo_u32 v7, v4, s82                                   // 000000006D78: D2850007 0000A504
	v_add_u32_e32 v70, v6, v7                                  // 000000006D80: 688C0F06
	v_readlane_b32 s82, v3, 18                                 // 000000006D84: D2890052 00012503
	s_lshr_b32 s61, s82, 24                                    // 000000006D8C: 8F3D9852
	s_and_b32 s82, s82, 0xffffff                               // 000000006D90: 8652FF52 00FFFFFF
	s_mul_i32 s82, s82, s71                                    // 000000006D98: 92524752
	s_mul_i32 s61, s60, s61                                    // 000000006D9C: 923D3D3C
	s_add_u32 s82, s82, s61                                    // 000000006DA0: 80523D52
	v_mul_lo_u32 v6, v5, s82                                   // 000000006DA4: D2850006 0000A505
	v_readlane_b32 s82, v3, 19                                 // 000000006DAC: D2890052 00012703
	s_lshr_b32 s61, s82, 24                                    // 000000006DB4: 8F3D9852
	s_and_b32 s82, s82, 0xffffff                               // 000000006DB8: 8652FF52 00FFFFFF
	s_mul_i32 s82, s82, s71                                    // 000000006DC0: 92524752
	s_mul_i32 s61, s60, s61                                    // 000000006DC4: 923D3D3C
	s_add_u32 s82, s82, s61                                    // 000000006DC8: 80523D52
	v_mul_lo_u32 v7, v4, s82                                   // 000000006DCC: D2850007 0000A504
	v_add_u32_e32 v71, v6, v7                                  // 000000006DD4: 688E0F06
	v_readlane_b32 s82, v3, 20                                 // 000000006DD8: D2890052 00012903
	s_lshr_b32 s61, s82, 24                                    // 000000006DE0: 8F3D9852
	s_and_b32 s82, s82, 0xffffff                               // 000000006DE4: 8652FF52 00FFFFFF
	s_mul_i32 s82, s82, s71                                    // 000000006DEC: 92524752
	s_mul_i32 s61, s60, s61                                    // 000000006DF0: 923D3D3C
	s_add_u32 s82, s82, s61                                    // 000000006DF4: 80523D52
	v_mul_lo_u32 v6, v5, s82                                   // 000000006DF8: D2850006 0000A505
	v_readlane_b32 s82, v3, 21                                 // 000000006E00: D2890052 00012B03
	s_lshr_b32 s61, s82, 24                                    // 000000006E08: 8F3D9852
	s_and_b32 s82, s82, 0xffffff                               // 000000006E0C: 8652FF52 00FFFFFF
	s_mul_i32 s82, s82, s71                                    // 000000006E14: 92524752
	s_mul_i32 s61, s60, s61                                    // 000000006E18: 923D3D3C
	s_add_u32 s82, s82, s61                                    // 000000006E1C: 80523D52
	v_mul_lo_u32 v7, v4, s82                                   // 000000006E20: D2850007 0000A504
	v_add_u32_e32 v72, v6, v7                                  // 000000006E28: 68900F06
	v_readlane_b32 s82, v3, 22                                 // 000000006E2C: D2890052 00012D03
	s_lshr_b32 s61, s82, 24                                    // 000000006E34: 8F3D9852
	s_and_b32 s82, s82, 0xffffff                               // 000000006E38: 8652FF52 00FFFFFF
	s_mul_i32 s82, s82, s71                                    // 000000006E40: 92524752
	s_mul_i32 s61, s60, s61                                    // 000000006E44: 923D3D3C
	s_add_u32 s82, s82, s61                                    // 000000006E48: 80523D52
	v_mul_lo_u32 v6, v5, s82                                   // 000000006E4C: D2850006 0000A505
	v_readlane_b32 s82, v3, 23                                 // 000000006E54: D2890052 00012F03
	s_lshr_b32 s61, s82, 24                                    // 000000006E5C: 8F3D9852
	s_and_b32 s82, s82, 0xffffff                               // 000000006E60: 8652FF52 00FFFFFF
	s_mul_i32 s82, s82, s71                                    // 000000006E68: 92524752
	s_mul_i32 s61, s60, s61                                    // 000000006E6C: 923D3D3C
	s_add_u32 s82, s82, s61                                    // 000000006E70: 80523D52
	v_mul_lo_u32 v7, v4, s82                                   // 000000006E74: D2850007 0000A504
	v_add_u32_e32 v73, v6, v7                                  // 000000006E7C: 68920F06
	v_readlane_b32 s82, v3, 24                                 // 000000006E80: D2890052 00013103
	s_lshr_b32 s61, s82, 24                                    // 000000006E88: 8F3D9852
	s_and_b32 s82, s82, 0xffffff                               // 000000006E8C: 8652FF52 00FFFFFF
	s_mul_i32 s82, s82, s71                                    // 000000006E94: 92524752
	s_mul_i32 s61, s60, s61                                    // 000000006E98: 923D3D3C
	s_add_u32 s82, s82, s61                                    // 000000006E9C: 80523D52
	v_mul_lo_u32 v6, v5, s82                                   // 000000006EA0: D2850006 0000A505
	v_readlane_b32 s82, v3, 25                                 // 000000006EA8: D2890052 00013303
	s_lshr_b32 s61, s82, 24                                    // 000000006EB0: 8F3D9852
	s_and_b32 s82, s82, 0xffffff                               // 000000006EB4: 8652FF52 00FFFFFF
	s_mul_i32 s82, s82, s71                                    // 000000006EBC: 92524752
	s_mul_i32 s61, s60, s61                                    // 000000006EC0: 923D3D3C
	s_add_u32 s82, s82, s61                                    // 000000006EC4: 80523D52
	v_mul_lo_u32 v7, v4, s82                                   // 000000006EC8: D2850007 0000A504
	v_add_u32_e32 v74, v6, v7                                  // 000000006ED0: 68940F06
	v_readlane_b32 s82, v3, 26                                 // 000000006ED4: D2890052 00013503
	s_lshr_b32 s61, s82, 24                                    // 000000006EDC: 8F3D9852
	s_and_b32 s82, s82, 0xffffff                               // 000000006EE0: 8652FF52 00FFFFFF
	s_mul_i32 s82, s82, s71                                    // 000000006EE8: 92524752
	s_mul_i32 s61, s60, s61                                    // 000000006EEC: 923D3D3C
	s_add_u32 s82, s82, s61                                    // 000000006EF0: 80523D52
	v_mul_lo_u32 v6, v5, s82                                   // 000000006EF4: D2850006 0000A505
	v_readlane_b32 s82, v3, 27                                 // 000000006EFC: D2890052 00013703
	s_lshr_b32 s61, s82, 24                                    // 000000006F04: 8F3D9852
	s_and_b32 s82, s82, 0xffffff                               // 000000006F08: 8652FF52 00FFFFFF
	s_mul_i32 s82, s82, s71                                    // 000000006F10: 92524752
	s_mul_i32 s61, s60, s61                                    // 000000006F14: 923D3D3C
	s_add_u32 s82, s82, s61                                    // 000000006F18: 80523D52
	v_mul_lo_u32 v7, v4, s82                                   // 000000006F1C: D2850007 0000A504
	v_add_u32_e32 v75, v6, v7                                  // 000000006F24: 68960F06
	v_readlane_b32 s82, v3, 28                                 // 000000006F28: D2890052 00013903
	s_lshr_b32 s61, s82, 24                                    // 000000006F30: 8F3D9852
	s_and_b32 s82, s82, 0xffffff                               // 000000006F34: 8652FF52 00FFFFFF
	s_mul_i32 s82, s82, s71                                    // 000000006F3C: 92524752
	s_mul_i32 s61, s60, s61                                    // 000000006F40: 923D3D3C
	s_add_u32 s82, s82, s61                                    // 000000006F44: 80523D52
	v_mul_lo_u32 v6, v5, s82                                   // 000000006F48: D2850006 0000A505
	v_readlane_b32 s82, v3, 29                                 // 000000006F50: D2890052 00013B03
	s_lshr_b32 s61, s82, 24                                    // 000000006F58: 8F3D9852
	s_and_b32 s82, s82, 0xffffff                               // 000000006F5C: 8652FF52 00FFFFFF
	s_mul_i32 s82, s82, s71                                    // 000000006F64: 92524752
	s_mul_i32 s61, s60, s61                                    // 000000006F68: 923D3D3C
	s_add_u32 s82, s82, s61                                    // 000000006F6C: 80523D52
	v_mul_lo_u32 v7, v4, s82                                   // 000000006F70: D2850007 0000A504
	v_add_u32_e32 v76, v6, v7                                  // 000000006F78: 68980F06
	v_readlane_b32 s82, v3, 30                                 // 000000006F7C: D2890052 00013D03
	s_lshr_b32 s61, s82, 24                                    // 000000006F84: 8F3D9852
	s_and_b32 s82, s82, 0xffffff                               // 000000006F88: 8652FF52 00FFFFFF
	s_mul_i32 s82, s82, s71                                    // 000000006F90: 92524752
	s_mul_i32 s61, s60, s61                                    // 000000006F94: 923D3D3C
	s_add_u32 s82, s82, s61                                    // 000000006F98: 80523D52
	v_mul_lo_u32 v6, v5, s82                                   // 000000006F9C: D2850006 0000A505
	v_readlane_b32 s82, v3, 31                                 // 000000006FA4: D2890052 00013F03
	s_lshr_b32 s61, s82, 24                                    // 000000006FAC: 8F3D9852
	s_and_b32 s82, s82, 0xffffff                               // 000000006FB0: 8652FF52 00FFFFFF
	s_mul_i32 s82, s82, s71                                    // 000000006FB8: 92524752
	s_mul_i32 s61, s60, s61                                    // 000000006FBC: 923D3D3C
	s_add_u32 s82, s82, s61                                    // 000000006FC0: 80523D52
	v_mul_lo_u32 v7, v4, s82                                   // 000000006FC4: D2850007 0000A504
	v_add_u32_e32 v77, v6, v7                                  // 000000006FCC: 689A0F06
	v_and_b32_e32 v4, 31, v0                                   // 000000006FD0: 2608009F
	v_lshrrev_b32_e32 v4, 1, v4                                // 000000006FD4: 20080881
	s_cmp_eq_u32 s88, 0                                        // 000000006FD8: BF068058
	s_cselect_b32 s61, 2, 4                                    // 000000006FDC: 853D8482
	v_mul_lo_u32 v4, v4, s61                                   // 000000006FE0: D2850004 00007B04
	v_and_b32_e64 v5, v0, 1                                    // 000000006FE8: D1130005 00010300
	v_add_u32_e32 v4, v4, v5                                   // 000000006FF0: 68080B04
	v_lshlrev_b32_e32 v4, 2, v4                                // 000000006FF4: 24080882
	v_add_u32_e32 v62, v62, v4                                 // 000000006FF8: 687C093E
	v_add_u32_e32 v63, v63, v4                                 // 000000006FFC: 687E093F
	v_add_u32_e32 v64, v64, v4                                 // 000000007000: 68800940
	v_add_u32_e32 v65, v65, v4                                 // 000000007004: 68820941
	;; [unrolled: 1-line block ×3, first 2 shown]
	v_add_u32_e32 v67, v67, v4                                 // 00000000700C: 68860943
	v_add_u32_e32 v68, v68, v4                                 // 000000007010: 68880944
	v_add_u32_e32 v69, v69, v4                                 // 000000007014: 688A0945
	v_add_u32_e32 v70, v70, v4                                 // 000000007018: 688C0946
	v_add_u32_e32 v71, v71, v4                                 // 00000000701C: 688E0947
	v_add_u32_e32 v72, v72, v4                                 // 000000007020: 68900948
	v_add_u32_e32 v73, v73, v4                                 // 000000007024: 68920949
	v_add_u32_e32 v74, v74, v4                                 // 000000007028: 6894094A
	v_add_u32_e32 v75, v75, v4                                 // 00000000702C: 6896094B
	v_add_u32_e32 v76, v76, v4                                 // 000000007030: 6898094C
	v_add_u32_e32 v77, v77, v4                                 // 000000007034: 689A094D
	s_waitcnt lgkmcnt(0)                                       // 000000007038: BF8CC07F
	s_barrier                                                  // 00000000703C: BF8A0000
	ds_read_b32 v80, v21                                       // 000000007040: D86C0000 50000015
	ds_read_b32 v81, v21 offset:64                             // 000000007048: D86C0040 51000015
	ds_read_b32 v84, v21 offset:2176                           // 000000007050: D86C0880 54000015
	ds_read_b32 v85, v21 offset:2240                           // 000000007058: D86C08C0 55000015
	ds_read_b32 v88, v21 offset:4352                           // 000000007060: D86C1100 58000015
	ds_read_b32 v89, v21 offset:4416                           // 000000007068: D86C1140 59000015
	ds_read_b32 v92, v21 offset:6528                           // 000000007070: D86C1980 5C000015
	ds_read_b32 v93, v21 offset:6592                           // 000000007078: D86C19C0 5D000015
	ds_read_b32 v96, v21 offset:8704                           // 000000007080: D86C2200 60000015
	ds_read_b32 v97, v21 offset:8768                           // 000000007088: D86C2240 61000015
	ds_read_b32 v100, v21 offset:10880                         // 000000007090: D86C2A80 64000015
	ds_read_b32 v101, v21 offset:10944                         // 000000007098: D86C2AC0 65000015
	ds_read_b32 v104, v21 offset:13056                         // 0000000070A0: D86C3300 68000015
	ds_read_b32 v105, v21 offset:13120                         // 0000000070A8: D86C3340 69000015
	ds_read_b32 v108, v21 offset:15232                         // 0000000070B0: D86C3B80 6C000015
	ds_read_b32 v109, v21 offset:15296                         // 0000000070B8: D86C3BC0 6D000015
	s_waitcnt lgkmcnt(0)                                       // 0000000070C0: BF8CC07F
	s_mov_b32 s36, -1                                          // 0000000070C4: BEA400C1
	s_mov_b32 s37, -1                                          // 0000000070C8: BEA500C1
	v_mov_b32_e32 v7, 0                                        // 0000000070CC: 7E0E0280
	s_mov_b64 exec, s[36:37]                                   // 0000000070D0: BEFE0124
	v_mov_b32_e32 v6, v62                                      // 0000000070D4: 7E0C033E
	s_mov_b64 s[60:61], 0                                      // 0000000070D8: BEBC0180
	v_readlane_b32 s82, v3, 0                                  // 0000000070DC: D2890052 00010103
	s_and_b32 s82, s82, 0xffffff                               // 0000000070E4: 8652FF52 00FFFFFF
	s_cmp_lt_u32 s82, s66                                      // 0000000070EC: BF0A4252
	s_cselect_b32 s20, s36, s60                                // 0000000070F0: 85143C24
	v_readlane_b32 s82, v3, 1                                  // 0000000070F4: D2890052 00010303
	s_and_b32 s82, s82, 0xffffff                               // 0000000070FC: 8652FF52 00FFFFFF
	s_cmp_lt_u32 s82, s66                                      // 000000007104: BF0A4252
	s_cselect_b32 s21, s36, s60                                // 000000007108: 85153C24
	s_mov_b64 exec, s[20:21]                                   // 00000000710C: BEFE0114
	global_atomic_add_f32 v6, v80, s[8:9]                      // 000000007110: DD348000 00085006
	s_mov_b64 exec, s[36:37]                                   // 000000007118: BEFE0124
	v_mov_b32_e32 v6, v63                                      // 00000000711C: 7E0C033F
	s_mov_b64 s[60:61], 0                                      // 000000007120: BEBC0180
	v_readlane_b32 s82, v3, 2                                  // 000000007124: D2890052 00010503
	s_and_b32 s82, s82, 0xffffff                               // 00000000712C: 8652FF52 00FFFFFF
	s_cmp_lt_u32 s82, s66                                      // 000000007134: BF0A4252
	s_cselect_b32 s20, s36, s60                                // 000000007138: 85143C24
	v_readlane_b32 s82, v3, 3                                  // 00000000713C: D2890052 00010703
	s_and_b32 s82, s82, 0xffffff                               // 000000007144: 8652FF52 00FFFFFF
	s_cmp_lt_u32 s82, s66                                      // 00000000714C: BF0A4252
	s_cselect_b32 s21, s36, s60                                // 000000007150: 85153C24
	s_mov_b64 exec, s[20:21]                                   // 000000007154: BEFE0114
	global_atomic_add_f32 v6, v81, s[8:9]                      // 000000007158: DD348000 00085106
	s_mov_b64 exec, s[36:37]                                   // 000000007160: BEFE0124
	v_mov_b32_e32 v6, v64                                      // 000000007164: 7E0C0340
	s_mov_b64 s[60:61], 0                                      // 000000007168: BEBC0180
	v_readlane_b32 s82, v3, 4                                  // 00000000716C: D2890052 00010903
	s_and_b32 s82, s82, 0xffffff                               // 000000007174: 8652FF52 00FFFFFF
	s_cmp_lt_u32 s82, s66                                      // 00000000717C: BF0A4252
	s_cselect_b32 s20, s36, s60                                // 000000007180: 85143C24
	v_readlane_b32 s82, v3, 5                                  // 000000007184: D2890052 00010B03
	s_and_b32 s82, s82, 0xffffff                               // 00000000718C: 8652FF52 00FFFFFF
	s_cmp_lt_u32 s82, s66                                      // 000000007194: BF0A4252
	s_cselect_b32 s21, s36, s60                                // 000000007198: 85153C24
	s_mov_b64 exec, s[20:21]                                   // 00000000719C: BEFE0114
	global_atomic_add_f32 v6, v84, s[8:9]                      // 0000000071A0: DD348000 00085406
	s_mov_b64 exec, s[36:37]                                   // 0000000071A8: BEFE0124
	v_mov_b32_e32 v6, v65                                      // 0000000071AC: 7E0C0341
	s_mov_b64 s[60:61], 0                                      // 0000000071B0: BEBC0180
	v_readlane_b32 s82, v3, 6                                  // 0000000071B4: D2890052 00010D03
	s_and_b32 s82, s82, 0xffffff                               // 0000000071BC: 8652FF52 00FFFFFF
	s_cmp_lt_u32 s82, s66                                      // 0000000071C4: BF0A4252
	s_cselect_b32 s20, s36, s60                                // 0000000071C8: 85143C24
	v_readlane_b32 s82, v3, 7                                  // 0000000071CC: D2890052 00010F03
	s_and_b32 s82, s82, 0xffffff                               // 0000000071D4: 8652FF52 00FFFFFF
	s_cmp_lt_u32 s82, s66                                      // 0000000071DC: BF0A4252
	s_cselect_b32 s21, s36, s60                                // 0000000071E0: 85153C24
	s_mov_b64 exec, s[20:21]                                   // 0000000071E4: BEFE0114
	global_atomic_add_f32 v6, v85, s[8:9]                      // 0000000071E8: DD348000 00085506
	s_mov_b64 exec, s[36:37]                                   // 0000000071F0: BEFE0124
	v_mov_b32_e32 v6, v66                                      // 0000000071F4: 7E0C0342
	s_mov_b64 s[60:61], 0                                      // 0000000071F8: BEBC0180
	v_readlane_b32 s82, v3, 8                                  // 0000000071FC: D2890052 00011103
	s_and_b32 s82, s82, 0xffffff                               // 000000007204: 8652FF52 00FFFFFF
	s_cmp_lt_u32 s82, s66                                      // 00000000720C: BF0A4252
	s_cselect_b32 s20, s36, s60                                // 000000007210: 85143C24
	v_readlane_b32 s82, v3, 9                                  // 000000007214: D2890052 00011303
	s_and_b32 s82, s82, 0xffffff                               // 00000000721C: 8652FF52 00FFFFFF
	s_cmp_lt_u32 s82, s66                                      // 000000007224: BF0A4252
	s_cselect_b32 s21, s36, s60                                // 000000007228: 85153C24
	s_mov_b64 exec, s[20:21]                                   // 00000000722C: BEFE0114
	global_atomic_add_f32 v6, v88, s[8:9]                      // 000000007230: DD348000 00085806
	s_mov_b64 exec, s[36:37]                                   // 000000007238: BEFE0124
	v_mov_b32_e32 v6, v67                                      // 00000000723C: 7E0C0343
	s_mov_b64 s[60:61], 0                                      // 000000007240: BEBC0180
	v_readlane_b32 s82, v3, 10                                 // 000000007244: D2890052 00011503
	s_and_b32 s82, s82, 0xffffff                               // 00000000724C: 8652FF52 00FFFFFF
	s_cmp_lt_u32 s82, s66                                      // 000000007254: BF0A4252
	s_cselect_b32 s20, s36, s60                                // 000000007258: 85143C24
	v_readlane_b32 s82, v3, 11                                 // 00000000725C: D2890052 00011703
	s_and_b32 s82, s82, 0xffffff                               // 000000007264: 8652FF52 00FFFFFF
	s_cmp_lt_u32 s82, s66                                      // 00000000726C: BF0A4252
	s_cselect_b32 s21, s36, s60                                // 000000007270: 85153C24
	s_mov_b64 exec, s[20:21]                                   // 000000007274: BEFE0114
	global_atomic_add_f32 v6, v89, s[8:9]                      // 000000007278: DD348000 00085906
	s_mov_b64 exec, s[36:37]                                   // 000000007280: BEFE0124
	v_mov_b32_e32 v6, v68                                      // 000000007284: 7E0C0344
	s_mov_b64 s[60:61], 0                                      // 000000007288: BEBC0180
	v_readlane_b32 s82, v3, 12                                 // 00000000728C: D2890052 00011903
	s_and_b32 s82, s82, 0xffffff                               // 000000007294: 8652FF52 00FFFFFF
	s_cmp_lt_u32 s82, s66                                      // 00000000729C: BF0A4252
	s_cselect_b32 s20, s36, s60                                // 0000000072A0: 85143C24
	v_readlane_b32 s82, v3, 13                                 // 0000000072A4: D2890052 00011B03
	s_and_b32 s82, s82, 0xffffff                               // 0000000072AC: 8652FF52 00FFFFFF
	s_cmp_lt_u32 s82, s66                                      // 0000000072B4: BF0A4252
	s_cselect_b32 s21, s36, s60                                // 0000000072B8: 85153C24
	s_mov_b64 exec, s[20:21]                                   // 0000000072BC: BEFE0114
	global_atomic_add_f32 v6, v92, s[8:9]                      // 0000000072C0: DD348000 00085C06
	s_mov_b64 exec, s[36:37]                                   // 0000000072C8: BEFE0124
	v_mov_b32_e32 v6, v69                                      // 0000000072CC: 7E0C0345
	s_mov_b64 s[60:61], 0                                      // 0000000072D0: BEBC0180
	v_readlane_b32 s82, v3, 14                                 // 0000000072D4: D2890052 00011D03
	s_and_b32 s82, s82, 0xffffff                               // 0000000072DC: 8652FF52 00FFFFFF
	s_cmp_lt_u32 s82, s66                                      // 0000000072E4: BF0A4252
	s_cselect_b32 s20, s36, s60                                // 0000000072E8: 85143C24
	v_readlane_b32 s82, v3, 15                                 // 0000000072EC: D2890052 00011F03
	s_and_b32 s82, s82, 0xffffff                               // 0000000072F4: 8652FF52 00FFFFFF
	s_cmp_lt_u32 s82, s66                                      // 0000000072FC: BF0A4252
	s_cselect_b32 s21, s36, s60                                // 000000007300: 85153C24
	s_mov_b64 exec, s[20:21]                                   // 000000007304: BEFE0114
	global_atomic_add_f32 v6, v93, s[8:9]                      // 000000007308: DD348000 00085D06
	s_mov_b64 exec, s[36:37]                                   // 000000007310: BEFE0124
	v_mov_b32_e32 v6, v70                                      // 000000007314: 7E0C0346
	s_mov_b64 s[60:61], 0                                      // 000000007318: BEBC0180
	v_readlane_b32 s82, v3, 16                                 // 00000000731C: D2890052 00012103
	s_and_b32 s82, s82, 0xffffff                               // 000000007324: 8652FF52 00FFFFFF
	s_cmp_lt_u32 s82, s66                                      // 00000000732C: BF0A4252
	s_cselect_b32 s20, s36, s60                                // 000000007330: 85143C24
	v_readlane_b32 s82, v3, 17                                 // 000000007334: D2890052 00012303
	s_and_b32 s82, s82, 0xffffff                               // 00000000733C: 8652FF52 00FFFFFF
	s_cmp_lt_u32 s82, s66                                      // 000000007344: BF0A4252
	s_cselect_b32 s21, s36, s60                                // 000000007348: 85153C24
	s_mov_b64 exec, s[20:21]                                   // 00000000734C: BEFE0114
	global_atomic_add_f32 v6, v96, s[8:9]                      // 000000007350: DD348000 00086006
	s_mov_b64 exec, s[36:37]                                   // 000000007358: BEFE0124
	v_mov_b32_e32 v6, v71                                      // 00000000735C: 7E0C0347
	s_mov_b64 s[60:61], 0                                      // 000000007360: BEBC0180
	v_readlane_b32 s82, v3, 18                                 // 000000007364: D2890052 00012503
	s_and_b32 s82, s82, 0xffffff                               // 00000000736C: 8652FF52 00FFFFFF
	s_cmp_lt_u32 s82, s66                                      // 000000007374: BF0A4252
	s_cselect_b32 s20, s36, s60                                // 000000007378: 85143C24
	v_readlane_b32 s82, v3, 19                                 // 00000000737C: D2890052 00012703
	s_and_b32 s82, s82, 0xffffff                               // 000000007384: 8652FF52 00FFFFFF
	s_cmp_lt_u32 s82, s66                                      // 00000000738C: BF0A4252
	s_cselect_b32 s21, s36, s60                                // 000000007390: 85153C24
	s_mov_b64 exec, s[20:21]                                   // 000000007394: BEFE0114
	global_atomic_add_f32 v6, v97, s[8:9]                      // 000000007398: DD348000 00086106
	s_mov_b64 exec, s[36:37]                                   // 0000000073A0: BEFE0124
	v_mov_b32_e32 v6, v72                                      // 0000000073A4: 7E0C0348
	s_mov_b64 s[60:61], 0                                      // 0000000073A8: BEBC0180
	v_readlane_b32 s82, v3, 20                                 // 0000000073AC: D2890052 00012903
	s_and_b32 s82, s82, 0xffffff                               // 0000000073B4: 8652FF52 00FFFFFF
	s_cmp_lt_u32 s82, s66                                      // 0000000073BC: BF0A4252
	s_cselect_b32 s20, s36, s60                                // 0000000073C0: 85143C24
	v_readlane_b32 s82, v3, 21                                 // 0000000073C4: D2890052 00012B03
	s_and_b32 s82, s82, 0xffffff                               // 0000000073CC: 8652FF52 00FFFFFF
	s_cmp_lt_u32 s82, s66                                      // 0000000073D4: BF0A4252
	s_cselect_b32 s21, s36, s60                                // 0000000073D8: 85153C24
	s_mov_b64 exec, s[20:21]                                   // 0000000073DC: BEFE0114
	global_atomic_add_f32 v6, v100, s[8:9]                     // 0000000073E0: DD348000 00086406
	s_mov_b64 exec, s[36:37]                                   // 0000000073E8: BEFE0124
	v_mov_b32_e32 v6, v73                                      // 0000000073EC: 7E0C0349
	s_mov_b64 s[60:61], 0                                      // 0000000073F0: BEBC0180
	v_readlane_b32 s82, v3, 22                                 // 0000000073F4: D2890052 00012D03
	s_and_b32 s82, s82, 0xffffff                               // 0000000073FC: 8652FF52 00FFFFFF
	s_cmp_lt_u32 s82, s66                                      // 000000007404: BF0A4252
	s_cselect_b32 s20, s36, s60                                // 000000007408: 85143C24
	v_readlane_b32 s82, v3, 23                                 // 00000000740C: D2890052 00012F03
	s_and_b32 s82, s82, 0xffffff                               // 000000007414: 8652FF52 00FFFFFF
	s_cmp_lt_u32 s82, s66                                      // 00000000741C: BF0A4252
	s_cselect_b32 s21, s36, s60                                // 000000007420: 85153C24
	s_mov_b64 exec, s[20:21]                                   // 000000007424: BEFE0114
	global_atomic_add_f32 v6, v101, s[8:9]                     // 000000007428: DD348000 00086506
	s_mov_b64 exec, s[36:37]                                   // 000000007430: BEFE0124
	v_mov_b32_e32 v6, v74                                      // 000000007434: 7E0C034A
	s_mov_b64 s[60:61], 0                                      // 000000007438: BEBC0180
	v_readlane_b32 s82, v3, 24                                 // 00000000743C: D2890052 00013103
	s_and_b32 s82, s82, 0xffffff                               // 000000007444: 8652FF52 00FFFFFF
	s_cmp_lt_u32 s82, s66                                      // 00000000744C: BF0A4252
	s_cselect_b32 s20, s36, s60                                // 000000007450: 85143C24
	v_readlane_b32 s82, v3, 25                                 // 000000007454: D2890052 00013303
	s_and_b32 s82, s82, 0xffffff                               // 00000000745C: 8652FF52 00FFFFFF
	s_cmp_lt_u32 s82, s66                                      // 000000007464: BF0A4252
	s_cselect_b32 s21, s36, s60                                // 000000007468: 85153C24
	s_mov_b64 exec, s[20:21]                                   // 00000000746C: BEFE0114
	global_atomic_add_f32 v6, v104, s[8:9]                     // 000000007470: DD348000 00086806
	s_mov_b64 exec, s[36:37]                                   // 000000007478: BEFE0124
	v_mov_b32_e32 v6, v75                                      // 00000000747C: 7E0C034B
	s_mov_b64 s[60:61], 0                                      // 000000007480: BEBC0180
	v_readlane_b32 s82, v3, 26                                 // 000000007484: D2890052 00013503
	s_and_b32 s82, s82, 0xffffff                               // 00000000748C: 8652FF52 00FFFFFF
	s_cmp_lt_u32 s82, s66                                      // 000000007494: BF0A4252
	s_cselect_b32 s20, s36, s60                                // 000000007498: 85143C24
	v_readlane_b32 s82, v3, 27                                 // 00000000749C: D2890052 00013703
	s_and_b32 s82, s82, 0xffffff                               // 0000000074A4: 8652FF52 00FFFFFF
	s_cmp_lt_u32 s82, s66                                      // 0000000074AC: BF0A4252
	s_cselect_b32 s21, s36, s60                                // 0000000074B0: 85153C24
	s_mov_b64 exec, s[20:21]                                   // 0000000074B4: BEFE0114
	global_atomic_add_f32 v6, v105, s[8:9]                     // 0000000074B8: DD348000 00086906
	s_mov_b64 exec, s[36:37]                                   // 0000000074C0: BEFE0124
	v_mov_b32_e32 v6, v76                                      // 0000000074C4: 7E0C034C
	s_mov_b64 s[60:61], 0                                      // 0000000074C8: BEBC0180
	v_readlane_b32 s82, v3, 28                                 // 0000000074CC: D2890052 00013903
	s_and_b32 s82, s82, 0xffffff                               // 0000000074D4: 8652FF52 00FFFFFF
	s_cmp_lt_u32 s82, s66                                      // 0000000074DC: BF0A4252
	s_cselect_b32 s20, s36, s60                                // 0000000074E0: 85143C24
	v_readlane_b32 s82, v3, 29                                 // 0000000074E4: D2890052 00013B03
	s_and_b32 s82, s82, 0xffffff                               // 0000000074EC: 8652FF52 00FFFFFF
	s_cmp_lt_u32 s82, s66                                      // 0000000074F4: BF0A4252
	s_cselect_b32 s21, s36, s60                                // 0000000074F8: 85153C24
	s_mov_b64 exec, s[20:21]                                   // 0000000074FC: BEFE0114
	global_atomic_add_f32 v6, v108, s[8:9]                     // 000000007500: DD348000 00086C06
	s_mov_b64 exec, s[36:37]                                   // 000000007508: BEFE0124
	v_mov_b32_e32 v6, v77                                      // 00000000750C: 7E0C034D
	s_mov_b64 s[60:61], 0                                      // 000000007510: BEBC0180
	v_readlane_b32 s82, v3, 30                                 // 000000007514: D2890052 00013D03
	s_and_b32 s82, s82, 0xffffff                               // 00000000751C: 8652FF52 00FFFFFF
	s_cmp_lt_u32 s82, s66                                      // 000000007524: BF0A4252
	s_cselect_b32 s20, s36, s60                                // 000000007528: 85143C24
	v_readlane_b32 s82, v3, 31                                 // 00000000752C: D2890052 00013F03
	s_and_b32 s82, s82, 0xffffff                               // 000000007534: 8652FF52 00FFFFFF
	s_cmp_lt_u32 s82, s66                                      // 00000000753C: BF0A4252
	s_cselect_b32 s21, s36, s60                                // 000000007540: 85153C24
	s_mov_b64 exec, s[20:21]                                   // 000000007544: BEFE0114
	global_atomic_add_f32 v6, v109, s[8:9]                     // 000000007548: DD348000 00086D06
	s_mov_b64 exec, s[36:37]                                   // 000000007550: BEFE0124
	ds_write_b64 v20, v[82:83]                                 // 000000007554: D89A0000 00005214
	ds_write_b64 v20, v[86:87] offset:2176                     // 00000000755C: D89A0880 00005614
	ds_write_b64 v20, v[90:91] offset:4352                     // 000000007564: D89A1100 00005A14
	ds_write_b64 v20, v[94:95] offset:6528                     // 00000000756C: D89A1980 00005E14
	ds_write_b64 v20, v[98:99] offset:8704                     // 000000007574: D89A2200 00006214
	ds_write_b64 v20, v[102:103] offset:10880                  // 00000000757C: D89A2A80 00006614
	ds_write_b64 v20, v[106:107] offset:13056                  // 000000007584: D89A3300 00006A14
	ds_write_b64 v20, v[110:111] offset:15232                  // 00000000758C: D89A3B80 00006E14
	s_waitcnt lgkmcnt(0)                                       // 000000007594: BF8CC07F
	s_barrier                                                  // 000000007598: BF8A0000
	ds_read_b32 v82, v21                                       // 00000000759C: D86C0000 52000015
	ds_read_b32 v83, v21 offset:64                             // 0000000075A4: D86C0040 53000015
	ds_read_b32 v86, v21 offset:2176                           // 0000000075AC: D86C0880 56000015
	ds_read_b32 v87, v21 offset:2240                           // 0000000075B4: D86C08C0 57000015
	ds_read_b32 v90, v21 offset:4352                           // 0000000075BC: D86C1100 5A000015
	ds_read_b32 v91, v21 offset:4416                           // 0000000075C4: D86C1140 5B000015
	ds_read_b32 v94, v21 offset:6528                           // 0000000075CC: D86C1980 5E000015
	ds_read_b32 v95, v21 offset:6592                           // 0000000075D4: D86C19C0 5F000015
	ds_read_b32 v98, v21 offset:8704                           // 0000000075DC: D86C2200 62000015
	ds_read_b32 v99, v21 offset:8768                           // 0000000075E4: D86C2240 63000015
	ds_read_b32 v102, v21 offset:10880                         // 0000000075EC: D86C2A80 66000015
	ds_read_b32 v103, v21 offset:10944                         // 0000000075F4: D86C2AC0 67000015
	ds_read_b32 v106, v21 offset:13056                         // 0000000075FC: D86C3300 6A000015
	ds_read_b32 v107, v21 offset:13120                         // 000000007604: D86C3340 6B000015
	ds_read_b32 v110, v21 offset:15232                         // 00000000760C: D86C3B80 6E000015
	ds_read_b32 v111, v21 offset:15296                         // 000000007614: D86C3BC0 6F000015
	s_waitcnt lgkmcnt(0)                                       // 00000000761C: BF8CC07F
	v_mov_b32_e32 v7, 0                                        // 000000007620: 7E0E0280
	s_mov_b64 exec, s[36:37]                                   // 000000007624: BEFE0124
	v_mov_b32_e32 v6, v62                                      // 000000007628: 7E0C033E
	s_mov_b64 s[60:61], 0                                      // 00000000762C: BEBC0180
	v_readlane_b32 s82, v3, 0                                  // 000000007630: D2890052 00010103
	s_and_b32 s82, s82, 0xffffff                               // 000000007638: 8652FF52 00FFFFFF
	s_cmp_lt_u32 s82, s66                                      // 000000007640: BF0A4252
	s_cselect_b32 s20, s36, s60                                // 000000007644: 85143C24
	v_readlane_b32 s82, v3, 1                                  // 000000007648: D2890052 00010303
	s_and_b32 s82, s82, 0xffffff                               // 000000007650: 8652FF52 00FFFFFF
	s_cmp_lt_u32 s82, s66                                      // 000000007658: BF0A4252
	s_cselect_b32 s21, s36, s60                                // 00000000765C: 85153C24
	s_mov_b64 exec, s[20:21]                                   // 000000007660: BEFE0114
	global_atomic_add_f32 v6, v82, s[8:9] offset:8             // 000000007664: DD348008 00085206
	s_mov_b64 exec, s[36:37]                                   // 00000000766C: BEFE0124
	v_mov_b32_e32 v6, v63                                      // 000000007670: 7E0C033F
	s_mov_b64 s[60:61], 0                                      // 000000007674: BEBC0180
	v_readlane_b32 s82, v3, 2                                  // 000000007678: D2890052 00010503
	s_and_b32 s82, s82, 0xffffff                               // 000000007680: 8652FF52 00FFFFFF
	s_cmp_lt_u32 s82, s66                                      // 000000007688: BF0A4252
	s_cselect_b32 s20, s36, s60                                // 00000000768C: 85143C24
	v_readlane_b32 s82, v3, 3                                  // 000000007690: D2890052 00010703
	s_and_b32 s82, s82, 0xffffff                               // 000000007698: 8652FF52 00FFFFFF
	s_cmp_lt_u32 s82, s66                                      // 0000000076A0: BF0A4252
	s_cselect_b32 s21, s36, s60                                // 0000000076A4: 85153C24
	s_mov_b64 exec, s[20:21]                                   // 0000000076A8: BEFE0114
	global_atomic_add_f32 v6, v83, s[8:9] offset:8             // 0000000076AC: DD348008 00085306
	s_mov_b64 exec, s[36:37]                                   // 0000000076B4: BEFE0124
	v_mov_b32_e32 v6, v64                                      // 0000000076B8: 7E0C0340
	s_mov_b64 s[60:61], 0                                      // 0000000076BC: BEBC0180
	v_readlane_b32 s82, v3, 4                                  // 0000000076C0: D2890052 00010903
	s_and_b32 s82, s82, 0xffffff                               // 0000000076C8: 8652FF52 00FFFFFF
	s_cmp_lt_u32 s82, s66                                      // 0000000076D0: BF0A4252
	s_cselect_b32 s20, s36, s60                                // 0000000076D4: 85143C24
	v_readlane_b32 s82, v3, 5                                  // 0000000076D8: D2890052 00010B03
	s_and_b32 s82, s82, 0xffffff                               // 0000000076E0: 8652FF52 00FFFFFF
	s_cmp_lt_u32 s82, s66                                      // 0000000076E8: BF0A4252
	s_cselect_b32 s21, s36, s60                                // 0000000076EC: 85153C24
	s_mov_b64 exec, s[20:21]                                   // 0000000076F0: BEFE0114
	global_atomic_add_f32 v6, v86, s[8:9] offset:8             // 0000000076F4: DD348008 00085606
	s_mov_b64 exec, s[36:37]                                   // 0000000076FC: BEFE0124
	v_mov_b32_e32 v6, v65                                      // 000000007700: 7E0C0341
	s_mov_b64 s[60:61], 0                                      // 000000007704: BEBC0180
	v_readlane_b32 s82, v3, 6                                  // 000000007708: D2890052 00010D03
	s_and_b32 s82, s82, 0xffffff                               // 000000007710: 8652FF52 00FFFFFF
	s_cmp_lt_u32 s82, s66                                      // 000000007718: BF0A4252
	s_cselect_b32 s20, s36, s60                                // 00000000771C: 85143C24
	v_readlane_b32 s82, v3, 7                                  // 000000007720: D2890052 00010F03
	s_and_b32 s82, s82, 0xffffff                               // 000000007728: 8652FF52 00FFFFFF
	s_cmp_lt_u32 s82, s66                                      // 000000007730: BF0A4252
	s_cselect_b32 s21, s36, s60                                // 000000007734: 85153C24
	s_mov_b64 exec, s[20:21]                                   // 000000007738: BEFE0114
	global_atomic_add_f32 v6, v87, s[8:9] offset:8             // 00000000773C: DD348008 00085706
	s_mov_b64 exec, s[36:37]                                   // 000000007744: BEFE0124
	v_mov_b32_e32 v6, v66                                      // 000000007748: 7E0C0342
	s_mov_b64 s[60:61], 0                                      // 00000000774C: BEBC0180
	v_readlane_b32 s82, v3, 8                                  // 000000007750: D2890052 00011103
	s_and_b32 s82, s82, 0xffffff                               // 000000007758: 8652FF52 00FFFFFF
	s_cmp_lt_u32 s82, s66                                      // 000000007760: BF0A4252
	s_cselect_b32 s20, s36, s60                                // 000000007764: 85143C24
	v_readlane_b32 s82, v3, 9                                  // 000000007768: D2890052 00011303
	s_and_b32 s82, s82, 0xffffff                               // 000000007770: 8652FF52 00FFFFFF
	s_cmp_lt_u32 s82, s66                                      // 000000007778: BF0A4252
	s_cselect_b32 s21, s36, s60                                // 00000000777C: 85153C24
	s_mov_b64 exec, s[20:21]                                   // 000000007780: BEFE0114
	global_atomic_add_f32 v6, v90, s[8:9] offset:8             // 000000007784: DD348008 00085A06
	s_mov_b64 exec, s[36:37]                                   // 00000000778C: BEFE0124
	v_mov_b32_e32 v6, v67                                      // 000000007790: 7E0C0343
	s_mov_b64 s[60:61], 0                                      // 000000007794: BEBC0180
	v_readlane_b32 s82, v3, 10                                 // 000000007798: D2890052 00011503
	s_and_b32 s82, s82, 0xffffff                               // 0000000077A0: 8652FF52 00FFFFFF
	s_cmp_lt_u32 s82, s66                                      // 0000000077A8: BF0A4252
	s_cselect_b32 s20, s36, s60                                // 0000000077AC: 85143C24
	v_readlane_b32 s82, v3, 11                                 // 0000000077B0: D2890052 00011703
	s_and_b32 s82, s82, 0xffffff                               // 0000000077B8: 8652FF52 00FFFFFF
	s_cmp_lt_u32 s82, s66                                      // 0000000077C0: BF0A4252
	s_cselect_b32 s21, s36, s60                                // 0000000077C4: 85153C24
	s_mov_b64 exec, s[20:21]                                   // 0000000077C8: BEFE0114
	global_atomic_add_f32 v6, v91, s[8:9] offset:8             // 0000000077CC: DD348008 00085B06
	s_mov_b64 exec, s[36:37]                                   // 0000000077D4: BEFE0124
	v_mov_b32_e32 v6, v68                                      // 0000000077D8: 7E0C0344
	s_mov_b64 s[60:61], 0                                      // 0000000077DC: BEBC0180
	v_readlane_b32 s82, v3, 12                                 // 0000000077E0: D2890052 00011903
	s_and_b32 s82, s82, 0xffffff                               // 0000000077E8: 8652FF52 00FFFFFF
	s_cmp_lt_u32 s82, s66                                      // 0000000077F0: BF0A4252
	s_cselect_b32 s20, s36, s60                                // 0000000077F4: 85143C24
	v_readlane_b32 s82, v3, 13                                 // 0000000077F8: D2890052 00011B03
	s_and_b32 s82, s82, 0xffffff                               // 000000007800: 8652FF52 00FFFFFF
	s_cmp_lt_u32 s82, s66                                      // 000000007808: BF0A4252
	s_cselect_b32 s21, s36, s60                                // 00000000780C: 85153C24
	s_mov_b64 exec, s[20:21]                                   // 000000007810: BEFE0114
	global_atomic_add_f32 v6, v94, s[8:9] offset:8             // 000000007814: DD348008 00085E06
	s_mov_b64 exec, s[36:37]                                   // 00000000781C: BEFE0124
	v_mov_b32_e32 v6, v69                                      // 000000007820: 7E0C0345
	s_mov_b64 s[60:61], 0                                      // 000000007824: BEBC0180
	v_readlane_b32 s82, v3, 14                                 // 000000007828: D2890052 00011D03
	s_and_b32 s82, s82, 0xffffff                               // 000000007830: 8652FF52 00FFFFFF
	s_cmp_lt_u32 s82, s66                                      // 000000007838: BF0A4252
	s_cselect_b32 s20, s36, s60                                // 00000000783C: 85143C24
	v_readlane_b32 s82, v3, 15                                 // 000000007840: D2890052 00011F03
	s_and_b32 s82, s82, 0xffffff                               // 000000007848: 8652FF52 00FFFFFF
	s_cmp_lt_u32 s82, s66                                      // 000000007850: BF0A4252
	s_cselect_b32 s21, s36, s60                                // 000000007854: 85153C24
	s_mov_b64 exec, s[20:21]                                   // 000000007858: BEFE0114
	global_atomic_add_f32 v6, v95, s[8:9] offset:8             // 00000000785C: DD348008 00085F06
	s_mov_b64 exec, s[36:37]                                   // 000000007864: BEFE0124
	v_mov_b32_e32 v6, v70                                      // 000000007868: 7E0C0346
	s_mov_b64 s[60:61], 0                                      // 00000000786C: BEBC0180
	v_readlane_b32 s82, v3, 16                                 // 000000007870: D2890052 00012103
	s_and_b32 s82, s82, 0xffffff                               // 000000007878: 8652FF52 00FFFFFF
	s_cmp_lt_u32 s82, s66                                      // 000000007880: BF0A4252
	s_cselect_b32 s20, s36, s60                                // 000000007884: 85143C24
	v_readlane_b32 s82, v3, 17                                 // 000000007888: D2890052 00012303
	s_and_b32 s82, s82, 0xffffff                               // 000000007890: 8652FF52 00FFFFFF
	s_cmp_lt_u32 s82, s66                                      // 000000007898: BF0A4252
	s_cselect_b32 s21, s36, s60                                // 00000000789C: 85153C24
	s_mov_b64 exec, s[20:21]                                   // 0000000078A0: BEFE0114
	global_atomic_add_f32 v6, v98, s[8:9] offset:8             // 0000000078A4: DD348008 00086206
	s_mov_b64 exec, s[36:37]                                   // 0000000078AC: BEFE0124
	v_mov_b32_e32 v6, v71                                      // 0000000078B0: 7E0C0347
	s_mov_b64 s[60:61], 0                                      // 0000000078B4: BEBC0180
	v_readlane_b32 s82, v3, 18                                 // 0000000078B8: D2890052 00012503
	s_and_b32 s82, s82, 0xffffff                               // 0000000078C0: 8652FF52 00FFFFFF
	s_cmp_lt_u32 s82, s66                                      // 0000000078C8: BF0A4252
	s_cselect_b32 s20, s36, s60                                // 0000000078CC: 85143C24
	v_readlane_b32 s82, v3, 19                                 // 0000000078D0: D2890052 00012703
	s_and_b32 s82, s82, 0xffffff                               // 0000000078D8: 8652FF52 00FFFFFF
	s_cmp_lt_u32 s82, s66                                      // 0000000078E0: BF0A4252
	s_cselect_b32 s21, s36, s60                                // 0000000078E4: 85153C24
	s_mov_b64 exec, s[20:21]                                   // 0000000078E8: BEFE0114
	global_atomic_add_f32 v6, v99, s[8:9] offset:8             // 0000000078EC: DD348008 00086306
	s_mov_b64 exec, s[36:37]                                   // 0000000078F4: BEFE0124
	v_mov_b32_e32 v6, v72                                      // 0000000078F8: 7E0C0348
	s_mov_b64 s[60:61], 0                                      // 0000000078FC: BEBC0180
	v_readlane_b32 s82, v3, 20                                 // 000000007900: D2890052 00012903
	s_and_b32 s82, s82, 0xffffff                               // 000000007908: 8652FF52 00FFFFFF
	s_cmp_lt_u32 s82, s66                                      // 000000007910: BF0A4252
	s_cselect_b32 s20, s36, s60                                // 000000007914: 85143C24
	v_readlane_b32 s82, v3, 21                                 // 000000007918: D2890052 00012B03
	s_and_b32 s82, s82, 0xffffff                               // 000000007920: 8652FF52 00FFFFFF
	s_cmp_lt_u32 s82, s66                                      // 000000007928: BF0A4252
	s_cselect_b32 s21, s36, s60                                // 00000000792C: 85153C24
	s_mov_b64 exec, s[20:21]                                   // 000000007930: BEFE0114
	global_atomic_add_f32 v6, v102, s[8:9] offset:8            // 000000007934: DD348008 00086606
	s_mov_b64 exec, s[36:37]                                   // 00000000793C: BEFE0124
	v_mov_b32_e32 v6, v73                                      // 000000007940: 7E0C0349
	s_mov_b64 s[60:61], 0                                      // 000000007944: BEBC0180
	v_readlane_b32 s82, v3, 22                                 // 000000007948: D2890052 00012D03
	s_and_b32 s82, s82, 0xffffff                               // 000000007950: 8652FF52 00FFFFFF
	s_cmp_lt_u32 s82, s66                                      // 000000007958: BF0A4252
	s_cselect_b32 s20, s36, s60                                // 00000000795C: 85143C24
	v_readlane_b32 s82, v3, 23                                 // 000000007960: D2890052 00012F03
	s_and_b32 s82, s82, 0xffffff                               // 000000007968: 8652FF52 00FFFFFF
	s_cmp_lt_u32 s82, s66                                      // 000000007970: BF0A4252
	s_cselect_b32 s21, s36, s60                                // 000000007974: 85153C24
	s_mov_b64 exec, s[20:21]                                   // 000000007978: BEFE0114
	global_atomic_add_f32 v6, v103, s[8:9] offset:8            // 00000000797C: DD348008 00086706
	s_mov_b64 exec, s[36:37]                                   // 000000007984: BEFE0124
	v_mov_b32_e32 v6, v74                                      // 000000007988: 7E0C034A
	s_mov_b64 s[60:61], 0                                      // 00000000798C: BEBC0180
	v_readlane_b32 s82, v3, 24                                 // 000000007990: D2890052 00013103
	s_and_b32 s82, s82, 0xffffff                               // 000000007998: 8652FF52 00FFFFFF
	s_cmp_lt_u32 s82, s66                                      // 0000000079A0: BF0A4252
	s_cselect_b32 s20, s36, s60                                // 0000000079A4: 85143C24
	v_readlane_b32 s82, v3, 25                                 // 0000000079A8: D2890052 00013303
	s_and_b32 s82, s82, 0xffffff                               // 0000000079B0: 8652FF52 00FFFFFF
	s_cmp_lt_u32 s82, s66                                      // 0000000079B8: BF0A4252
	s_cselect_b32 s21, s36, s60                                // 0000000079BC: 85153C24
	s_mov_b64 exec, s[20:21]                                   // 0000000079C0: BEFE0114
	global_atomic_add_f32 v6, v106, s[8:9] offset:8            // 0000000079C4: DD348008 00086A06
	s_mov_b64 exec, s[36:37]                                   // 0000000079CC: BEFE0124
	v_mov_b32_e32 v6, v75                                      // 0000000079D0: 7E0C034B
	s_mov_b64 s[60:61], 0                                      // 0000000079D4: BEBC0180
	v_readlane_b32 s82, v3, 26                                 // 0000000079D8: D2890052 00013503
	s_and_b32 s82, s82, 0xffffff                               // 0000000079E0: 8652FF52 00FFFFFF
	s_cmp_lt_u32 s82, s66                                      // 0000000079E8: BF0A4252
	s_cselect_b32 s20, s36, s60                                // 0000000079EC: 85143C24
	v_readlane_b32 s82, v3, 27                                 // 0000000079F0: D2890052 00013703
	s_and_b32 s82, s82, 0xffffff                               // 0000000079F8: 8652FF52 00FFFFFF
	s_cmp_lt_u32 s82, s66                                      // 000000007A00: BF0A4252
	s_cselect_b32 s21, s36, s60                                // 000000007A04: 85153C24
	s_mov_b64 exec, s[20:21]                                   // 000000007A08: BEFE0114
	global_atomic_add_f32 v6, v107, s[8:9] offset:8            // 000000007A0C: DD348008 00086B06
	s_mov_b64 exec, s[36:37]                                   // 000000007A14: BEFE0124
	v_mov_b32_e32 v6, v76                                      // 000000007A18: 7E0C034C
	s_mov_b64 s[60:61], 0                                      // 000000007A1C: BEBC0180
	v_readlane_b32 s82, v3, 28                                 // 000000007A20: D2890052 00013903
	s_and_b32 s82, s82, 0xffffff                               // 000000007A28: 8652FF52 00FFFFFF
	s_cmp_lt_u32 s82, s66                                      // 000000007A30: BF0A4252
	s_cselect_b32 s20, s36, s60                                // 000000007A34: 85143C24
	v_readlane_b32 s82, v3, 29                                 // 000000007A38: D2890052 00013B03
	s_and_b32 s82, s82, 0xffffff                               // 000000007A40: 8652FF52 00FFFFFF
	s_cmp_lt_u32 s82, s66                                      // 000000007A48: BF0A4252
	s_cselect_b32 s21, s36, s60                                // 000000007A4C: 85153C24
	s_mov_b64 exec, s[20:21]                                   // 000000007A50: BEFE0114
	global_atomic_add_f32 v6, v110, s[8:9] offset:8            // 000000007A54: DD348008 00086E06
	s_mov_b64 exec, s[36:37]                                   // 000000007A5C: BEFE0124
	v_mov_b32_e32 v6, v77                                      // 000000007A60: 7E0C034D
	s_mov_b64 s[60:61], 0                                      // 000000007A64: BEBC0180
	v_readlane_b32 s82, v3, 30                                 // 000000007A68: D2890052 00013D03
	s_and_b32 s82, s82, 0xffffff                               // 000000007A70: 8652FF52 00FFFFFF
	s_cmp_lt_u32 s82, s66                                      // 000000007A78: BF0A4252
	s_cselect_b32 s20, s36, s60                                // 000000007A7C: 85143C24
	v_readlane_b32 s82, v3, 31                                 // 000000007A80: D2890052 00013F03
	s_and_b32 s82, s82, 0xffffff                               // 000000007A88: 8652FF52 00FFFFFF
	s_cmp_lt_u32 s82, s66                                      // 000000007A90: BF0A4252
	s_cselect_b32 s21, s36, s60                                // 000000007A94: 85153C24
	s_mov_b64 exec, s[20:21]                                   // 000000007A98: BEFE0114
	global_atomic_add_f32 v6, v111, s[8:9] offset:8            // 000000007A9C: DD348008 00086F06
	s_mov_b64 exec, s[36:37]                                   // 000000007AA4: BEFE0124
	ds_write_b64 v20, v[112:113]                               // 000000007AA8: D89A0000 00007014
	ds_write_b64 v20, v[116:117] offset:2176                   // 000000007AB0: D89A0880 00007414
	ds_write_b64 v20, v[120:121] offset:4352                   // 000000007AB8: D89A1100 00007814
	ds_write_b64 v20, v[124:125] offset:6528                   // 000000007AC0: D89A1980 00007C14
	ds_write_b64 v20, v[128:129] offset:8704                   // 000000007AC8: D89A2200 00008014
	ds_write_b64 v20, v[132:133] offset:10880                  // 000000007AD0: D89A2A80 00008414
	ds_write_b64 v20, v[136:137] offset:13056                  // 000000007AD8: D89A3300 00008814
	ds_write_b64 v20, v[140:141] offset:15232                  // 000000007AE0: D89A3B80 00008C14
	s_waitcnt lgkmcnt(0)                                       // 000000007AE8: BF8CC07F
	s_barrier                                                  // 000000007AEC: BF8A0000
	ds_read_b32 v112, v21                                      // 000000007AF0: D86C0000 70000015
	ds_read_b32 v113, v21 offset:64                            // 000000007AF8: D86C0040 71000015
	ds_read_b32 v116, v21 offset:2176                          // 000000007B00: D86C0880 74000015
	ds_read_b32 v117, v21 offset:2240                          // 000000007B08: D86C08C0 75000015
	ds_read_b32 v120, v21 offset:4352                          // 000000007B10: D86C1100 78000015
	ds_read_b32 v121, v21 offset:4416                          // 000000007B18: D86C1140 79000015
	ds_read_b32 v124, v21 offset:6528                          // 000000007B20: D86C1980 7C000015
	ds_read_b32 v125, v21 offset:6592                          // 000000007B28: D86C19C0 7D000015
	ds_read_b32 v128, v21 offset:8704                          // 000000007B30: D86C2200 80000015
	ds_read_b32 v129, v21 offset:8768                          // 000000007B38: D86C2240 81000015
	ds_read_b32 v132, v21 offset:10880                         // 000000007B40: D86C2A80 84000015
	ds_read_b32 v133, v21 offset:10944                         // 000000007B48: D86C2AC0 85000015
	ds_read_b32 v136, v21 offset:13056                         // 000000007B50: D86C3300 88000015
	ds_read_b32 v137, v21 offset:13120                         // 000000007B58: D86C3340 89000015
	ds_read_b32 v140, v21 offset:15232                         // 000000007B60: D86C3B80 8C000015
	ds_read_b32 v141, v21 offset:15296                         // 000000007B68: D86C3BC0 8D000015
	s_mul_i32 s60, s65, 4                                      // 000000007B70: 923C8441
	s_add_u32 s8, s60, s8                                      // 000000007B74: 8008083C
	s_addc_u32 s9, 0, s9                                       // 000000007B78: 82090980
	s_waitcnt lgkmcnt(0)                                       // 000000007B7C: BF8CC07F
	v_mov_b32_e32 v7, 0                                        // 000000007B80: 7E0E0280
	s_mov_b64 exec, s[36:37]                                   // 000000007B84: BEFE0124
	v_mov_b32_e32 v6, v62                                      // 000000007B88: 7E0C033E
	s_mov_b64 s[60:61], 0                                      // 000000007B8C: BEBC0180
	v_readlane_b32 s82, v3, 0                                  // 000000007B90: D2890052 00010103
	s_and_b32 s82, s82, 0xffffff                               // 000000007B98: 8652FF52 00FFFFFF
	s_cmp_lt_u32 s82, s66                                      // 000000007BA0: BF0A4252
	s_cselect_b32 s20, s36, s60                                // 000000007BA4: 85143C24
	v_readlane_b32 s82, v3, 1                                  // 000000007BA8: D2890052 00010303
	s_and_b32 s82, s82, 0xffffff                               // 000000007BB0: 8652FF52 00FFFFFF
	s_cmp_lt_u32 s82, s66                                      // 000000007BB8: BF0A4252
	s_cselect_b32 s21, s36, s60                                // 000000007BBC: 85153C24
	s_mov_b64 exec, s[20:21]                                   // 000000007BC0: BEFE0114
	global_atomic_add_f32 v6, v112, s[8:9]                     // 000000007BC4: DD348000 00087006
	s_mov_b64 exec, s[36:37]                                   // 000000007BCC: BEFE0124
	v_mov_b32_e32 v6, v63                                      // 000000007BD0: 7E0C033F
	s_mov_b64 s[60:61], 0                                      // 000000007BD4: BEBC0180
	v_readlane_b32 s82, v3, 2                                  // 000000007BD8: D2890052 00010503
	s_and_b32 s82, s82, 0xffffff                               // 000000007BE0: 8652FF52 00FFFFFF
	s_cmp_lt_u32 s82, s66                                      // 000000007BE8: BF0A4252
	s_cselect_b32 s20, s36, s60                                // 000000007BEC: 85143C24
	v_readlane_b32 s82, v3, 3                                  // 000000007BF0: D2890052 00010703
	s_and_b32 s82, s82, 0xffffff                               // 000000007BF8: 8652FF52 00FFFFFF
	s_cmp_lt_u32 s82, s66                                      // 000000007C00: BF0A4252
	s_cselect_b32 s21, s36, s60                                // 000000007C04: 85153C24
	s_mov_b64 exec, s[20:21]                                   // 000000007C08: BEFE0114
	global_atomic_add_f32 v6, v113, s[8:9]                     // 000000007C0C: DD348000 00087106
	s_mov_b64 exec, s[36:37]                                   // 000000007C14: BEFE0124
	v_mov_b32_e32 v6, v64                                      // 000000007C18: 7E0C0340
	s_mov_b64 s[60:61], 0                                      // 000000007C1C: BEBC0180
	v_readlane_b32 s82, v3, 4                                  // 000000007C20: D2890052 00010903
	s_and_b32 s82, s82, 0xffffff                               // 000000007C28: 8652FF52 00FFFFFF
	s_cmp_lt_u32 s82, s66                                      // 000000007C30: BF0A4252
	s_cselect_b32 s20, s36, s60                                // 000000007C34: 85143C24
	v_readlane_b32 s82, v3, 5                                  // 000000007C38: D2890052 00010B03
	s_and_b32 s82, s82, 0xffffff                               // 000000007C40: 8652FF52 00FFFFFF
	s_cmp_lt_u32 s82, s66                                      // 000000007C48: BF0A4252
	s_cselect_b32 s21, s36, s60                                // 000000007C4C: 85153C24
	s_mov_b64 exec, s[20:21]                                   // 000000007C50: BEFE0114
	global_atomic_add_f32 v6, v116, s[8:9]                     // 000000007C54: DD348000 00087406
	s_mov_b64 exec, s[36:37]                                   // 000000007C5C: BEFE0124
	v_mov_b32_e32 v6, v65                                      // 000000007C60: 7E0C0341
	s_mov_b64 s[60:61], 0                                      // 000000007C64: BEBC0180
	v_readlane_b32 s82, v3, 6                                  // 000000007C68: D2890052 00010D03
	s_and_b32 s82, s82, 0xffffff                               // 000000007C70: 8652FF52 00FFFFFF
	s_cmp_lt_u32 s82, s66                                      // 000000007C78: BF0A4252
	s_cselect_b32 s20, s36, s60                                // 000000007C7C: 85143C24
	v_readlane_b32 s82, v3, 7                                  // 000000007C80: D2890052 00010F03
	s_and_b32 s82, s82, 0xffffff                               // 000000007C88: 8652FF52 00FFFFFF
	s_cmp_lt_u32 s82, s66                                      // 000000007C90: BF0A4252
	s_cselect_b32 s21, s36, s60                                // 000000007C94: 85153C24
	s_mov_b64 exec, s[20:21]                                   // 000000007C98: BEFE0114
	global_atomic_add_f32 v6, v117, s[8:9]                     // 000000007C9C: DD348000 00087506
	s_mov_b64 exec, s[36:37]                                   // 000000007CA4: BEFE0124
	v_mov_b32_e32 v6, v66                                      // 000000007CA8: 7E0C0342
	s_mov_b64 s[60:61], 0                                      // 000000007CAC: BEBC0180
	v_readlane_b32 s82, v3, 8                                  // 000000007CB0: D2890052 00011103
	s_and_b32 s82, s82, 0xffffff                               // 000000007CB8: 8652FF52 00FFFFFF
	s_cmp_lt_u32 s82, s66                                      // 000000007CC0: BF0A4252
	s_cselect_b32 s20, s36, s60                                // 000000007CC4: 85143C24
	v_readlane_b32 s82, v3, 9                                  // 000000007CC8: D2890052 00011303
	s_and_b32 s82, s82, 0xffffff                               // 000000007CD0: 8652FF52 00FFFFFF
	s_cmp_lt_u32 s82, s66                                      // 000000007CD8: BF0A4252
	s_cselect_b32 s21, s36, s60                                // 000000007CDC: 85153C24
	s_mov_b64 exec, s[20:21]                                   // 000000007CE0: BEFE0114
	global_atomic_add_f32 v6, v120, s[8:9]                     // 000000007CE4: DD348000 00087806
	s_mov_b64 exec, s[36:37]                                   // 000000007CEC: BEFE0124
	v_mov_b32_e32 v6, v67                                      // 000000007CF0: 7E0C0343
	s_mov_b64 s[60:61], 0                                      // 000000007CF4: BEBC0180
	v_readlane_b32 s82, v3, 10                                 // 000000007CF8: D2890052 00011503
	s_and_b32 s82, s82, 0xffffff                               // 000000007D00: 8652FF52 00FFFFFF
	s_cmp_lt_u32 s82, s66                                      // 000000007D08: BF0A4252
	s_cselect_b32 s20, s36, s60                                // 000000007D0C: 85143C24
	v_readlane_b32 s82, v3, 11                                 // 000000007D10: D2890052 00011703
	s_and_b32 s82, s82, 0xffffff                               // 000000007D18: 8652FF52 00FFFFFF
	s_cmp_lt_u32 s82, s66                                      // 000000007D20: BF0A4252
	s_cselect_b32 s21, s36, s60                                // 000000007D24: 85153C24
	s_mov_b64 exec, s[20:21]                                   // 000000007D28: BEFE0114
	global_atomic_add_f32 v6, v121, s[8:9]                     // 000000007D2C: DD348000 00087906
	s_mov_b64 exec, s[36:37]                                   // 000000007D34: BEFE0124
	v_mov_b32_e32 v6, v68                                      // 000000007D38: 7E0C0344
	s_mov_b64 s[60:61], 0                                      // 000000007D3C: BEBC0180
	v_readlane_b32 s82, v3, 12                                 // 000000007D40: D2890052 00011903
	s_and_b32 s82, s82, 0xffffff                               // 000000007D48: 8652FF52 00FFFFFF
	s_cmp_lt_u32 s82, s66                                      // 000000007D50: BF0A4252
	s_cselect_b32 s20, s36, s60                                // 000000007D54: 85143C24
	v_readlane_b32 s82, v3, 13                                 // 000000007D58: D2890052 00011B03
	s_and_b32 s82, s82, 0xffffff                               // 000000007D60: 8652FF52 00FFFFFF
	s_cmp_lt_u32 s82, s66                                      // 000000007D68: BF0A4252
	s_cselect_b32 s21, s36, s60                                // 000000007D6C: 85153C24
	s_mov_b64 exec, s[20:21]                                   // 000000007D70: BEFE0114
	global_atomic_add_f32 v6, v124, s[8:9]                     // 000000007D74: DD348000 00087C06
	s_mov_b64 exec, s[36:37]                                   // 000000007D7C: BEFE0124
	v_mov_b32_e32 v6, v69                                      // 000000007D80: 7E0C0345
	s_mov_b64 s[60:61], 0                                      // 000000007D84: BEBC0180
	v_readlane_b32 s82, v3, 14                                 // 000000007D88: D2890052 00011D03
	s_and_b32 s82, s82, 0xffffff                               // 000000007D90: 8652FF52 00FFFFFF
	s_cmp_lt_u32 s82, s66                                      // 000000007D98: BF0A4252
	s_cselect_b32 s20, s36, s60                                // 000000007D9C: 85143C24
	v_readlane_b32 s82, v3, 15                                 // 000000007DA0: D2890052 00011F03
	s_and_b32 s82, s82, 0xffffff                               // 000000007DA8: 8652FF52 00FFFFFF
	s_cmp_lt_u32 s82, s66                                      // 000000007DB0: BF0A4252
	s_cselect_b32 s21, s36, s60                                // 000000007DB4: 85153C24
	s_mov_b64 exec, s[20:21]                                   // 000000007DB8: BEFE0114
	global_atomic_add_f32 v6, v125, s[8:9]                     // 000000007DBC: DD348000 00087D06
	s_mov_b64 exec, s[36:37]                                   // 000000007DC4: BEFE0124
	v_mov_b32_e32 v6, v70                                      // 000000007DC8: 7E0C0346
	s_mov_b64 s[60:61], 0                                      // 000000007DCC: BEBC0180
	v_readlane_b32 s82, v3, 16                                 // 000000007DD0: D2890052 00012103
	s_and_b32 s82, s82, 0xffffff                               // 000000007DD8: 8652FF52 00FFFFFF
	s_cmp_lt_u32 s82, s66                                      // 000000007DE0: BF0A4252
	s_cselect_b32 s20, s36, s60                                // 000000007DE4: 85143C24
	v_readlane_b32 s82, v3, 17                                 // 000000007DE8: D2890052 00012303
	s_and_b32 s82, s82, 0xffffff                               // 000000007DF0: 8652FF52 00FFFFFF
	s_cmp_lt_u32 s82, s66                                      // 000000007DF8: BF0A4252
	s_cselect_b32 s21, s36, s60                                // 000000007DFC: 85153C24
	s_mov_b64 exec, s[20:21]                                   // 000000007E00: BEFE0114
	global_atomic_add_f32 v6, v128, s[8:9]                     // 000000007E04: DD348000 00088006
	s_mov_b64 exec, s[36:37]                                   // 000000007E0C: BEFE0124
	v_mov_b32_e32 v6, v71                                      // 000000007E10: 7E0C0347
	s_mov_b64 s[60:61], 0                                      // 000000007E14: BEBC0180
	v_readlane_b32 s82, v3, 18                                 // 000000007E18: D2890052 00012503
	s_and_b32 s82, s82, 0xffffff                               // 000000007E20: 8652FF52 00FFFFFF
	s_cmp_lt_u32 s82, s66                                      // 000000007E28: BF0A4252
	s_cselect_b32 s20, s36, s60                                // 000000007E2C: 85143C24
	v_readlane_b32 s82, v3, 19                                 // 000000007E30: D2890052 00012703
	s_and_b32 s82, s82, 0xffffff                               // 000000007E38: 8652FF52 00FFFFFF
	s_cmp_lt_u32 s82, s66                                      // 000000007E40: BF0A4252
	s_cselect_b32 s21, s36, s60                                // 000000007E44: 85153C24
	s_mov_b64 exec, s[20:21]                                   // 000000007E48: BEFE0114
	global_atomic_add_f32 v6, v129, s[8:9]                     // 000000007E4C: DD348000 00088106
	s_mov_b64 exec, s[36:37]                                   // 000000007E54: BEFE0124
	v_mov_b32_e32 v6, v72                                      // 000000007E58: 7E0C0348
	s_mov_b64 s[60:61], 0                                      // 000000007E5C: BEBC0180
	v_readlane_b32 s82, v3, 20                                 // 000000007E60: D2890052 00012903
	s_and_b32 s82, s82, 0xffffff                               // 000000007E68: 8652FF52 00FFFFFF
	s_cmp_lt_u32 s82, s66                                      // 000000007E70: BF0A4252
	s_cselect_b32 s20, s36, s60                                // 000000007E74: 85143C24
	v_readlane_b32 s82, v3, 21                                 // 000000007E78: D2890052 00012B03
	s_and_b32 s82, s82, 0xffffff                               // 000000007E80: 8652FF52 00FFFFFF
	s_cmp_lt_u32 s82, s66                                      // 000000007E88: BF0A4252
	s_cselect_b32 s21, s36, s60                                // 000000007E8C: 85153C24
	s_mov_b64 exec, s[20:21]                                   // 000000007E90: BEFE0114
	global_atomic_add_f32 v6, v132, s[8:9]                     // 000000007E94: DD348000 00088406
	s_mov_b64 exec, s[36:37]                                   // 000000007E9C: BEFE0124
	v_mov_b32_e32 v6, v73                                      // 000000007EA0: 7E0C0349
	s_mov_b64 s[60:61], 0                                      // 000000007EA4: BEBC0180
	v_readlane_b32 s82, v3, 22                                 // 000000007EA8: D2890052 00012D03
	s_and_b32 s82, s82, 0xffffff                               // 000000007EB0: 8652FF52 00FFFFFF
	s_cmp_lt_u32 s82, s66                                      // 000000007EB8: BF0A4252
	s_cselect_b32 s20, s36, s60                                // 000000007EBC: 85143C24
	v_readlane_b32 s82, v3, 23                                 // 000000007EC0: D2890052 00012F03
	s_and_b32 s82, s82, 0xffffff                               // 000000007EC8: 8652FF52 00FFFFFF
	s_cmp_lt_u32 s82, s66                                      // 000000007ED0: BF0A4252
	s_cselect_b32 s21, s36, s60                                // 000000007ED4: 85153C24
	s_mov_b64 exec, s[20:21]                                   // 000000007ED8: BEFE0114
	global_atomic_add_f32 v6, v133, s[8:9]                     // 000000007EDC: DD348000 00088506
	s_mov_b64 exec, s[36:37]                                   // 000000007EE4: BEFE0124
	v_mov_b32_e32 v6, v74                                      // 000000007EE8: 7E0C034A
	s_mov_b64 s[60:61], 0                                      // 000000007EEC: BEBC0180
	v_readlane_b32 s82, v3, 24                                 // 000000007EF0: D2890052 00013103
	s_and_b32 s82, s82, 0xffffff                               // 000000007EF8: 8652FF52 00FFFFFF
	s_cmp_lt_u32 s82, s66                                      // 000000007F00: BF0A4252
	s_cselect_b32 s20, s36, s60                                // 000000007F04: 85143C24
	v_readlane_b32 s82, v3, 25                                 // 000000007F08: D2890052 00013303
	s_and_b32 s82, s82, 0xffffff                               // 000000007F10: 8652FF52 00FFFFFF
	s_cmp_lt_u32 s82, s66                                      // 000000007F18: BF0A4252
	s_cselect_b32 s21, s36, s60                                // 000000007F1C: 85153C24
	s_mov_b64 exec, s[20:21]                                   // 000000007F20: BEFE0114
	global_atomic_add_f32 v6, v136, s[8:9]                     // 000000007F24: DD348000 00088806
	s_mov_b64 exec, s[36:37]                                   // 000000007F2C: BEFE0124
	v_mov_b32_e32 v6, v75                                      // 000000007F30: 7E0C034B
	s_mov_b64 s[60:61], 0                                      // 000000007F34: BEBC0180
	v_readlane_b32 s82, v3, 26                                 // 000000007F38: D2890052 00013503
	s_and_b32 s82, s82, 0xffffff                               // 000000007F40: 8652FF52 00FFFFFF
	s_cmp_lt_u32 s82, s66                                      // 000000007F48: BF0A4252
	s_cselect_b32 s20, s36, s60                                // 000000007F4C: 85143C24
	v_readlane_b32 s82, v3, 27                                 // 000000007F50: D2890052 00013703
	s_and_b32 s82, s82, 0xffffff                               // 000000007F58: 8652FF52 00FFFFFF
	s_cmp_lt_u32 s82, s66                                      // 000000007F60: BF0A4252
	s_cselect_b32 s21, s36, s60                                // 000000007F64: 85153C24
	s_mov_b64 exec, s[20:21]                                   // 000000007F68: BEFE0114
	global_atomic_add_f32 v6, v137, s[8:9]                     // 000000007F6C: DD348000 00088906
	s_mov_b64 exec, s[36:37]                                   // 000000007F74: BEFE0124
	v_mov_b32_e32 v6, v76                                      // 000000007F78: 7E0C034C
	s_mov_b64 s[60:61], 0                                      // 000000007F7C: BEBC0180
	v_readlane_b32 s82, v3, 28                                 // 000000007F80: D2890052 00013903
	s_and_b32 s82, s82, 0xffffff                               // 000000007F88: 8652FF52 00FFFFFF
	s_cmp_lt_u32 s82, s66                                      // 000000007F90: BF0A4252
	s_cselect_b32 s20, s36, s60                                // 000000007F94: 85143C24
	v_readlane_b32 s82, v3, 29                                 // 000000007F98: D2890052 00013B03
	s_and_b32 s82, s82, 0xffffff                               // 000000007FA0: 8652FF52 00FFFFFF
	s_cmp_lt_u32 s82, s66                                      // 000000007FA8: BF0A4252
	s_cselect_b32 s21, s36, s60                                // 000000007FAC: 85153C24
	s_mov_b64 exec, s[20:21]                                   // 000000007FB0: BEFE0114
	global_atomic_add_f32 v6, v140, s[8:9]                     // 000000007FB4: DD348000 00088C06
	s_mov_b64 exec, s[36:37]                                   // 000000007FBC: BEFE0124
	v_mov_b32_e32 v6, v77                                      // 000000007FC0: 7E0C034D
	s_mov_b64 s[60:61], 0                                      // 000000007FC4: BEBC0180
	v_readlane_b32 s82, v3, 30                                 // 000000007FC8: D2890052 00013D03
	s_and_b32 s82, s82, 0xffffff                               // 000000007FD0: 8652FF52 00FFFFFF
	s_cmp_lt_u32 s82, s66                                      // 000000007FD8: BF0A4252
	s_cselect_b32 s20, s36, s60                                // 000000007FDC: 85143C24
	v_readlane_b32 s82, v3, 31                                 // 000000007FE0: D2890052 00013F03
	s_and_b32 s82, s82, 0xffffff                               // 000000007FE8: 8652FF52 00FFFFFF
	s_cmp_lt_u32 s82, s66                                      // 000000007FF0: BF0A4252
	s_cselect_b32 s21, s36, s60                                // 000000007FF4: 85153C24
	s_mov_b64 exec, s[20:21]                                   // 000000007FF8: BEFE0114
	global_atomic_add_f32 v6, v141, s[8:9]                     // 000000007FFC: DD348000 00088D06
	s_mov_b64 exec, s[36:37]                                   // 000000008004: BEFE0124
	ds_write_b64 v20, v[114:115]                               // 000000008008: D89A0000 00007214
	ds_write_b64 v20, v[118:119] offset:2176                   // 000000008010: D89A0880 00007614
	ds_write_b64 v20, v[122:123] offset:4352                   // 000000008018: D89A1100 00007A14
	ds_write_b64 v20, v[126:127] offset:6528                   // 000000008020: D89A1980 00007E14
	ds_write_b64 v20, v[130:131] offset:8704                   // 000000008028: D89A2200 00008214
	ds_write_b64 v20, v[134:135] offset:10880                  // 000000008030: D89A2A80 00008614
	ds_write_b64 v20, v[138:139] offset:13056                  // 000000008038: D89A3300 00008A14
	ds_write_b64 v20, v[142:143] offset:15232                  // 000000008040: D89A3B80 00008E14
	s_waitcnt lgkmcnt(0)                                       // 000000008048: BF8CC07F
	s_barrier                                                  // 00000000804C: BF8A0000
	ds_read_b32 v114, v21                                      // 000000008050: D86C0000 72000015
	ds_read_b32 v115, v21 offset:64                            // 000000008058: D86C0040 73000015
	ds_read_b32 v118, v21 offset:2176                          // 000000008060: D86C0880 76000015
	ds_read_b32 v119, v21 offset:2240                          // 000000008068: D86C08C0 77000015
	ds_read_b32 v122, v21 offset:4352                          // 000000008070: D86C1100 7A000015
	ds_read_b32 v123, v21 offset:4416                          // 000000008078: D86C1140 7B000015
	ds_read_b32 v126, v21 offset:6528                          // 000000008080: D86C1980 7E000015
	ds_read_b32 v127, v21 offset:6592                          // 000000008088: D86C19C0 7F000015
	ds_read_b32 v130, v21 offset:8704                          // 000000008090: D86C2200 82000015
	ds_read_b32 v131, v21 offset:8768                          // 000000008098: D86C2240 83000015
	ds_read_b32 v134, v21 offset:10880                         // 0000000080A0: D86C2A80 86000015
	ds_read_b32 v135, v21 offset:10944                         // 0000000080A8: D86C2AC0 87000015
	ds_read_b32 v138, v21 offset:13056                         // 0000000080B0: D86C3300 8A000015
	ds_read_b32 v139, v21 offset:13120                         // 0000000080B8: D86C3340 8B000015
	ds_read_b32 v142, v21 offset:15232                         // 0000000080C0: D86C3B80 8E000015
	ds_read_b32 v143, v21 offset:15296                         // 0000000080C8: D86C3BC0 8F000015
	s_waitcnt lgkmcnt(0)                                       // 0000000080D0: BF8CC07F
	v_mov_b32_e32 v7, 0                                        // 0000000080D4: 7E0E0280
	s_mov_b64 exec, s[36:37]                                   // 0000000080D8: BEFE0124
	v_mov_b32_e32 v6, v62                                      // 0000000080DC: 7E0C033E
	s_mov_b64 s[60:61], 0                                      // 0000000080E0: BEBC0180
	v_readlane_b32 s82, v3, 0                                  // 0000000080E4: D2890052 00010103
	s_and_b32 s82, s82, 0xffffff                               // 0000000080EC: 8652FF52 00FFFFFF
	s_cmp_lt_u32 s82, s66                                      // 0000000080F4: BF0A4252
	s_cselect_b32 s20, s36, s60                                // 0000000080F8: 85143C24
	v_readlane_b32 s82, v3, 1                                  // 0000000080FC: D2890052 00010303
	s_and_b32 s82, s82, 0xffffff                               // 000000008104: 8652FF52 00FFFFFF
	s_cmp_lt_u32 s82, s66                                      // 00000000810C: BF0A4252
	s_cselect_b32 s21, s36, s60                                // 000000008110: 85153C24
	s_mov_b64 exec, s[20:21]                                   // 000000008114: BEFE0114
	global_atomic_add_f32 v6, v114, s[8:9] offset:8            // 000000008118: DD348008 00087206
	s_mov_b64 exec, s[36:37]                                   // 000000008120: BEFE0124
	v_mov_b32_e32 v6, v63                                      // 000000008124: 7E0C033F
	s_mov_b64 s[60:61], 0                                      // 000000008128: BEBC0180
	v_readlane_b32 s82, v3, 2                                  // 00000000812C: D2890052 00010503
	s_and_b32 s82, s82, 0xffffff                               // 000000008134: 8652FF52 00FFFFFF
	s_cmp_lt_u32 s82, s66                                      // 00000000813C: BF0A4252
	s_cselect_b32 s20, s36, s60                                // 000000008140: 85143C24
	v_readlane_b32 s82, v3, 3                                  // 000000008144: D2890052 00010703
	s_and_b32 s82, s82, 0xffffff                               // 00000000814C: 8652FF52 00FFFFFF
	s_cmp_lt_u32 s82, s66                                      // 000000008154: BF0A4252
	s_cselect_b32 s21, s36, s60                                // 000000008158: 85153C24
	s_mov_b64 exec, s[20:21]                                   // 00000000815C: BEFE0114
	global_atomic_add_f32 v6, v115, s[8:9] offset:8            // 000000008160: DD348008 00087306
	s_mov_b64 exec, s[36:37]                                   // 000000008168: BEFE0124
	v_mov_b32_e32 v6, v64                                      // 00000000816C: 7E0C0340
	s_mov_b64 s[60:61], 0                                      // 000000008170: BEBC0180
	v_readlane_b32 s82, v3, 4                                  // 000000008174: D2890052 00010903
	s_and_b32 s82, s82, 0xffffff                               // 00000000817C: 8652FF52 00FFFFFF
	s_cmp_lt_u32 s82, s66                                      // 000000008184: BF0A4252
	s_cselect_b32 s20, s36, s60                                // 000000008188: 85143C24
	v_readlane_b32 s82, v3, 5                                  // 00000000818C: D2890052 00010B03
	s_and_b32 s82, s82, 0xffffff                               // 000000008194: 8652FF52 00FFFFFF
	s_cmp_lt_u32 s82, s66                                      // 00000000819C: BF0A4252
	s_cselect_b32 s21, s36, s60                                // 0000000081A0: 85153C24
	s_mov_b64 exec, s[20:21]                                   // 0000000081A4: BEFE0114
	global_atomic_add_f32 v6, v118, s[8:9] offset:8            // 0000000081A8: DD348008 00087606
	s_mov_b64 exec, s[36:37]                                   // 0000000081B0: BEFE0124
	v_mov_b32_e32 v6, v65                                      // 0000000081B4: 7E0C0341
	s_mov_b64 s[60:61], 0                                      // 0000000081B8: BEBC0180
	v_readlane_b32 s82, v3, 6                                  // 0000000081BC: D2890052 00010D03
	s_and_b32 s82, s82, 0xffffff                               // 0000000081C4: 8652FF52 00FFFFFF
	s_cmp_lt_u32 s82, s66                                      // 0000000081CC: BF0A4252
	s_cselect_b32 s20, s36, s60                                // 0000000081D0: 85143C24
	v_readlane_b32 s82, v3, 7                                  // 0000000081D4: D2890052 00010F03
	s_and_b32 s82, s82, 0xffffff                               // 0000000081DC: 8652FF52 00FFFFFF
	s_cmp_lt_u32 s82, s66                                      // 0000000081E4: BF0A4252
	s_cselect_b32 s21, s36, s60                                // 0000000081E8: 85153C24
	s_mov_b64 exec, s[20:21]                                   // 0000000081EC: BEFE0114
	global_atomic_add_f32 v6, v119, s[8:9] offset:8            // 0000000081F0: DD348008 00087706
	s_mov_b64 exec, s[36:37]                                   // 0000000081F8: BEFE0124
	v_mov_b32_e32 v6, v66                                      // 0000000081FC: 7E0C0342
	s_mov_b64 s[60:61], 0                                      // 000000008200: BEBC0180
	v_readlane_b32 s82, v3, 8                                  // 000000008204: D2890052 00011103
	s_and_b32 s82, s82, 0xffffff                               // 00000000820C: 8652FF52 00FFFFFF
	s_cmp_lt_u32 s82, s66                                      // 000000008214: BF0A4252
	s_cselect_b32 s20, s36, s60                                // 000000008218: 85143C24
	v_readlane_b32 s82, v3, 9                                  // 00000000821C: D2890052 00011303
	s_and_b32 s82, s82, 0xffffff                               // 000000008224: 8652FF52 00FFFFFF
	s_cmp_lt_u32 s82, s66                                      // 00000000822C: BF0A4252
	s_cselect_b32 s21, s36, s60                                // 000000008230: 85153C24
	s_mov_b64 exec, s[20:21]                                   // 000000008234: BEFE0114
	global_atomic_add_f32 v6, v122, s[8:9] offset:8            // 000000008238: DD348008 00087A06
	s_mov_b64 exec, s[36:37]                                   // 000000008240: BEFE0124
	v_mov_b32_e32 v6, v67                                      // 000000008244: 7E0C0343
	s_mov_b64 s[60:61], 0                                      // 000000008248: BEBC0180
	v_readlane_b32 s82, v3, 10                                 // 00000000824C: D2890052 00011503
	s_and_b32 s82, s82, 0xffffff                               // 000000008254: 8652FF52 00FFFFFF
	s_cmp_lt_u32 s82, s66                                      // 00000000825C: BF0A4252
	s_cselect_b32 s20, s36, s60                                // 000000008260: 85143C24
	v_readlane_b32 s82, v3, 11                                 // 000000008264: D2890052 00011703
	s_and_b32 s82, s82, 0xffffff                               // 00000000826C: 8652FF52 00FFFFFF
	s_cmp_lt_u32 s82, s66                                      // 000000008274: BF0A4252
	s_cselect_b32 s21, s36, s60                                // 000000008278: 85153C24
	s_mov_b64 exec, s[20:21]                                   // 00000000827C: BEFE0114
	global_atomic_add_f32 v6, v123, s[8:9] offset:8            // 000000008280: DD348008 00087B06
	s_mov_b64 exec, s[36:37]                                   // 000000008288: BEFE0124
	v_mov_b32_e32 v6, v68                                      // 00000000828C: 7E0C0344
	s_mov_b64 s[60:61], 0                                      // 000000008290: BEBC0180
	v_readlane_b32 s82, v3, 12                                 // 000000008294: D2890052 00011903
	s_and_b32 s82, s82, 0xffffff                               // 00000000829C: 8652FF52 00FFFFFF
	s_cmp_lt_u32 s82, s66                                      // 0000000082A4: BF0A4252
	s_cselect_b32 s20, s36, s60                                // 0000000082A8: 85143C24
	v_readlane_b32 s82, v3, 13                                 // 0000000082AC: D2890052 00011B03
	s_and_b32 s82, s82, 0xffffff                               // 0000000082B4: 8652FF52 00FFFFFF
	s_cmp_lt_u32 s82, s66                                      // 0000000082BC: BF0A4252
	s_cselect_b32 s21, s36, s60                                // 0000000082C0: 85153C24
	s_mov_b64 exec, s[20:21]                                   // 0000000082C4: BEFE0114
	global_atomic_add_f32 v6, v126, s[8:9] offset:8            // 0000000082C8: DD348008 00087E06
	s_mov_b64 exec, s[36:37]                                   // 0000000082D0: BEFE0124
	v_mov_b32_e32 v6, v69                                      // 0000000082D4: 7E0C0345
	s_mov_b64 s[60:61], 0                                      // 0000000082D8: BEBC0180
	v_readlane_b32 s82, v3, 14                                 // 0000000082DC: D2890052 00011D03
	s_and_b32 s82, s82, 0xffffff                               // 0000000082E4: 8652FF52 00FFFFFF
	s_cmp_lt_u32 s82, s66                                      // 0000000082EC: BF0A4252
	s_cselect_b32 s20, s36, s60                                // 0000000082F0: 85143C24
	v_readlane_b32 s82, v3, 15                                 // 0000000082F4: D2890052 00011F03
	s_and_b32 s82, s82, 0xffffff                               // 0000000082FC: 8652FF52 00FFFFFF
	s_cmp_lt_u32 s82, s66                                      // 000000008304: BF0A4252
	s_cselect_b32 s21, s36, s60                                // 000000008308: 85153C24
	s_mov_b64 exec, s[20:21]                                   // 00000000830C: BEFE0114
	global_atomic_add_f32 v6, v127, s[8:9] offset:8            // 000000008310: DD348008 00087F06
	s_mov_b64 exec, s[36:37]                                   // 000000008318: BEFE0124
	v_mov_b32_e32 v6, v70                                      // 00000000831C: 7E0C0346
	s_mov_b64 s[60:61], 0                                      // 000000008320: BEBC0180
	v_readlane_b32 s82, v3, 16                                 // 000000008324: D2890052 00012103
	s_and_b32 s82, s82, 0xffffff                               // 00000000832C: 8652FF52 00FFFFFF
	s_cmp_lt_u32 s82, s66                                      // 000000008334: BF0A4252
	s_cselect_b32 s20, s36, s60                                // 000000008338: 85143C24
	v_readlane_b32 s82, v3, 17                                 // 00000000833C: D2890052 00012303
	s_and_b32 s82, s82, 0xffffff                               // 000000008344: 8652FF52 00FFFFFF
	s_cmp_lt_u32 s82, s66                                      // 00000000834C: BF0A4252
	s_cselect_b32 s21, s36, s60                                // 000000008350: 85153C24
	s_mov_b64 exec, s[20:21]                                   // 000000008354: BEFE0114
	global_atomic_add_f32 v6, v130, s[8:9] offset:8            // 000000008358: DD348008 00088206
	s_mov_b64 exec, s[36:37]                                   // 000000008360: BEFE0124
	v_mov_b32_e32 v6, v71                                      // 000000008364: 7E0C0347
	s_mov_b64 s[60:61], 0                                      // 000000008368: BEBC0180
	v_readlane_b32 s82, v3, 18                                 // 00000000836C: D2890052 00012503
	s_and_b32 s82, s82, 0xffffff                               // 000000008374: 8652FF52 00FFFFFF
	s_cmp_lt_u32 s82, s66                                      // 00000000837C: BF0A4252
	s_cselect_b32 s20, s36, s60                                // 000000008380: 85143C24
	v_readlane_b32 s82, v3, 19                                 // 000000008384: D2890052 00012703
	s_and_b32 s82, s82, 0xffffff                               // 00000000838C: 8652FF52 00FFFFFF
	s_cmp_lt_u32 s82, s66                                      // 000000008394: BF0A4252
	s_cselect_b32 s21, s36, s60                                // 000000008398: 85153C24
	s_mov_b64 exec, s[20:21]                                   // 00000000839C: BEFE0114
	global_atomic_add_f32 v6, v131, s[8:9] offset:8            // 0000000083A0: DD348008 00088306
	s_mov_b64 exec, s[36:37]                                   // 0000000083A8: BEFE0124
	v_mov_b32_e32 v6, v72                                      // 0000000083AC: 7E0C0348
	s_mov_b64 s[60:61], 0                                      // 0000000083B0: BEBC0180
	v_readlane_b32 s82, v3, 20                                 // 0000000083B4: D2890052 00012903
	s_and_b32 s82, s82, 0xffffff                               // 0000000083BC: 8652FF52 00FFFFFF
	s_cmp_lt_u32 s82, s66                                      // 0000000083C4: BF0A4252
	s_cselect_b32 s20, s36, s60                                // 0000000083C8: 85143C24
	v_readlane_b32 s82, v3, 21                                 // 0000000083CC: D2890052 00012B03
	s_and_b32 s82, s82, 0xffffff                               // 0000000083D4: 8652FF52 00FFFFFF
	s_cmp_lt_u32 s82, s66                                      // 0000000083DC: BF0A4252
	s_cselect_b32 s21, s36, s60                                // 0000000083E0: 85153C24
	s_mov_b64 exec, s[20:21]                                   // 0000000083E4: BEFE0114
	global_atomic_add_f32 v6, v134, s[8:9] offset:8            // 0000000083E8: DD348008 00088606
	s_mov_b64 exec, s[36:37]                                   // 0000000083F0: BEFE0124
	v_mov_b32_e32 v6, v73                                      // 0000000083F4: 7E0C0349
	s_mov_b64 s[60:61], 0                                      // 0000000083F8: BEBC0180
	v_readlane_b32 s82, v3, 22                                 // 0000000083FC: D2890052 00012D03
	s_and_b32 s82, s82, 0xffffff                               // 000000008404: 8652FF52 00FFFFFF
	s_cmp_lt_u32 s82, s66                                      // 00000000840C: BF0A4252
	s_cselect_b32 s20, s36, s60                                // 000000008410: 85143C24
	v_readlane_b32 s82, v3, 23                                 // 000000008414: D2890052 00012F03
	s_and_b32 s82, s82, 0xffffff                               // 00000000841C: 8652FF52 00FFFFFF
	s_cmp_lt_u32 s82, s66                                      // 000000008424: BF0A4252
	s_cselect_b32 s21, s36, s60                                // 000000008428: 85153C24
	s_mov_b64 exec, s[20:21]                                   // 00000000842C: BEFE0114
	global_atomic_add_f32 v6, v135, s[8:9] offset:8            // 000000008430: DD348008 00088706
	s_mov_b64 exec, s[36:37]                                   // 000000008438: BEFE0124
	v_mov_b32_e32 v6, v74                                      // 00000000843C: 7E0C034A
	s_mov_b64 s[60:61], 0                                      // 000000008440: BEBC0180
	v_readlane_b32 s82, v3, 24                                 // 000000008444: D2890052 00013103
	s_and_b32 s82, s82, 0xffffff                               // 00000000844C: 8652FF52 00FFFFFF
	s_cmp_lt_u32 s82, s66                                      // 000000008454: BF0A4252
	s_cselect_b32 s20, s36, s60                                // 000000008458: 85143C24
	v_readlane_b32 s82, v3, 25                                 // 00000000845C: D2890052 00013303
	s_and_b32 s82, s82, 0xffffff                               // 000000008464: 8652FF52 00FFFFFF
	s_cmp_lt_u32 s82, s66                                      // 00000000846C: BF0A4252
	s_cselect_b32 s21, s36, s60                                // 000000008470: 85153C24
	s_mov_b64 exec, s[20:21]                                   // 000000008474: BEFE0114
	global_atomic_add_f32 v6, v138, s[8:9] offset:8            // 000000008478: DD348008 00088A06
	s_mov_b64 exec, s[36:37]                                   // 000000008480: BEFE0124
	v_mov_b32_e32 v6, v75                                      // 000000008484: 7E0C034B
	s_mov_b64 s[60:61], 0                                      // 000000008488: BEBC0180
	v_readlane_b32 s82, v3, 26                                 // 00000000848C: D2890052 00013503
	s_and_b32 s82, s82, 0xffffff                               // 000000008494: 8652FF52 00FFFFFF
	s_cmp_lt_u32 s82, s66                                      // 00000000849C: BF0A4252
	s_cselect_b32 s20, s36, s60                                // 0000000084A0: 85143C24
	v_readlane_b32 s82, v3, 27                                 // 0000000084A4: D2890052 00013703
	s_and_b32 s82, s82, 0xffffff                               // 0000000084AC: 8652FF52 00FFFFFF
	s_cmp_lt_u32 s82, s66                                      // 0000000084B4: BF0A4252
	s_cselect_b32 s21, s36, s60                                // 0000000084B8: 85153C24
	s_mov_b64 exec, s[20:21]                                   // 0000000084BC: BEFE0114
	global_atomic_add_f32 v6, v139, s[8:9] offset:8            // 0000000084C0: DD348008 00088B06
	s_mov_b64 exec, s[36:37]                                   // 0000000084C8: BEFE0124
	v_mov_b32_e32 v6, v76                                      // 0000000084CC: 7E0C034C
	s_mov_b64 s[60:61], 0                                      // 0000000084D0: BEBC0180
	v_readlane_b32 s82, v3, 28                                 // 0000000084D4: D2890052 00013903
	s_and_b32 s82, s82, 0xffffff                               // 0000000084DC: 8652FF52 00FFFFFF
	s_cmp_lt_u32 s82, s66                                      // 0000000084E4: BF0A4252
	s_cselect_b32 s20, s36, s60                                // 0000000084E8: 85143C24
	v_readlane_b32 s82, v3, 29                                 // 0000000084EC: D2890052 00013B03
	s_and_b32 s82, s82, 0xffffff                               // 0000000084F4: 8652FF52 00FFFFFF
	s_cmp_lt_u32 s82, s66                                      // 0000000084FC: BF0A4252
	s_cselect_b32 s21, s36, s60                                // 000000008500: 85153C24
	s_mov_b64 exec, s[20:21]                                   // 000000008504: BEFE0114
	global_atomic_add_f32 v6, v142, s[8:9] offset:8            // 000000008508: DD348008 00088E06
	s_mov_b64 exec, s[36:37]                                   // 000000008510: BEFE0124
	v_mov_b32_e32 v6, v77                                      // 000000008514: 7E0C034D
	s_mov_b64 s[60:61], 0                                      // 000000008518: BEBC0180
	v_readlane_b32 s82, v3, 30                                 // 00000000851C: D2890052 00013D03
	s_and_b32 s82, s82, 0xffffff                               // 000000008524: 8652FF52 00FFFFFF
	s_cmp_lt_u32 s82, s66                                      // 00000000852C: BF0A4252
	s_cselect_b32 s20, s36, s60                                // 000000008530: 85143C24
	v_readlane_b32 s82, v3, 31                                 // 000000008534: D2890052 00013F03
	s_and_b32 s82, s82, 0xffffff                               // 00000000853C: 8652FF52 00FFFFFF
	s_cmp_lt_u32 s82, s66                                      // 000000008544: BF0A4252
	s_cselect_b32 s21, s36, s60                                // 000000008548: 85153C24
	s_mov_b64 exec, s[20:21]                                   // 00000000854C: BEFE0114
	global_atomic_add_f32 v6, v143, s[8:9] offset:8            // 000000008550: DD348008 00088F06
	s_mov_b64 exec, s[36:37]                                   // 000000008558: BEFE0124
	s_branch label_2A63                                        // 00000000855C: BF821388

0000000000008560 <label_16DB>:
	s_waitcnt vmcnt(18) lgkmcnt(0)                             // 000000008560: BF8C4072
	v_mfma_f32_16x16x32_fp8_fp8 v[80:83], a[128:129], a[0:1], v[80:83]// 000000008564: D3F30050 1D420180
	buffer_load_dwordx4 a[144:147], v78, s[24:27], 0 offen     // 00000000856C: E05C1000 8086904E
	v_mfma_f32_16x16x32_fp8_fp8 v[80:83], a[130:131], a[2:3], v[80:83]// 000000008574: D3F30050 1D420582
	v_mfma_f32_16x16x32_fp8_fp8 v[80:83], a[132:133], a[4:5], v[80:83]// 00000000857C: D3F30050 1D420984
	v_mfma_f32_16x16x32_fp8_fp8 v[80:83], a[134:135], a[6:7], v[80:83]// 000000008584: D3F30050 1D420D86
	v_mfma_f32_16x16x32_fp8_fp8 v[84:87], a[128:129], a[8:9], v[84:87]// 00000000858C: D3F30054 1D521180
	buffer_load_dwordx4 a[148:151], v78, s[24:27], 0 offen offset:1024// 000000008594: E05C1400 8086944E
	buffer_load_dword v62, s[20:23], 0 offen lds               // 00000000859C: E0511000 8005003E
	s_add_u32 m0, 0x100, s50                                   // 0000000085A4: 807C32FF 00000100
	v_mfma_f32_16x16x32_fp8_fp8 v[84:87], a[130:131], a[10:11], v[84:87]// 0000000085AC: D3F30054 1D521582
	v_mfma_f32_16x16x32_fp8_fp8 v[84:87], a[132:133], a[12:13], v[84:87]// 0000000085B4: D3F30054 1D521984
	buffer_load_dword v63, s[20:23], 0 offen lds               // 0000000085BC: E0511000 8005003F
	s_add_u32 m0, 0x200, s50                                   // 0000000085C4: 807C32FF 00000200
	v_mfma_f32_16x16x32_fp8_fp8 v[84:87], a[134:135], a[14:15], v[84:87]// 0000000085CC: D3F30054 1D521D86
	v_mfma_f32_16x16x32_fp8_fp8 v[88:91], a[128:129], a[16:17], v[88:91]// 0000000085D4: D3F30058 1D622180
	buffer_load_dword v64, s[20:23], 0 offen lds               // 0000000085DC: E0511000 80050040
	s_add_u32 m0, 0x300, s50                                   // 0000000085E4: 807C32FF 00000300
	v_mfma_f32_16x16x32_fp8_fp8 v[88:91], a[130:131], a[18:19], v[88:91]// 0000000085EC: D3F30058 1D622582
	v_mfma_f32_16x16x32_fp8_fp8 v[88:91], a[132:133], a[20:21], v[88:91]// 0000000085F4: D3F30058 1D622984
	buffer_load_dword v65, s[20:23], 0 offen lds               // 0000000085FC: E0511000 80050041
	s_add_u32 m0, 0x400, s50                                   // 000000008604: 807C32FF 00000400
	v_mfma_f32_16x16x32_fp8_fp8 v[88:91], a[134:135], a[22:23], v[88:91]// 00000000860C: D3F30058 1D622D86
	v_mfma_f32_16x16x32_fp8_fp8 v[92:95], a[128:129], a[24:25], v[92:95]// 000000008614: D3F3005C 1D723180
	buffer_load_dword v66, s[20:23], 0 offen lds               // 00000000861C: E0511000 80050042
	s_add_u32 m0, 0x500, s50                                   // 000000008624: 807C32FF 00000500
	v_mfma_f32_16x16x32_fp8_fp8 v[92:95], a[130:131], a[26:27], v[92:95]// 00000000862C: D3F3005C 1D723582
	v_mfma_f32_16x16x32_fp8_fp8 v[92:95], a[132:133], a[28:29], v[92:95]// 000000008634: D3F3005C 1D723984
	buffer_load_dword v67, s[20:23], 0 offen lds               // 00000000863C: E0511000 80050043
	s_add_u32 m0, 0x600, s50                                   // 000000008644: 807C32FF 00000600
	v_mfma_f32_16x16x32_fp8_fp8 v[92:95], a[134:135], a[30:31], v[92:95]// 00000000864C: D3F3005C 1D723D86
	v_mfma_f32_16x16x32_fp8_fp8 v[96:99], a[128:129], a[32:33], v[96:99]// 000000008654: D3F30060 1D824180
	v_mfma_f32_16x16x32_fp8_fp8 v[96:99], a[130:131], a[34:35], v[96:99]// 00000000865C: D3F30060 1D824582
	v_mfma_f32_16x16x32_fp8_fp8 v[96:99], a[132:133], a[36:37], v[96:99]// 000000008664: D3F30060 1D824984
	v_mfma_f32_16x16x32_fp8_fp8 v[96:99], a[134:135], a[38:39], v[96:99]// 00000000866C: D3F30060 1D824D86
	v_mfma_f32_16x16x32_fp8_fp8 v[100:103], a[128:129], a[40:41], v[100:103]// 000000008674: D3F30064 1D925180
	buffer_load_dword v68, s[20:23], 0 offen lds               // 00000000867C: E0511000 80050044
	s_add_u32 m0, 0x700, s50                                   // 000000008684: 807C32FF 00000700
	v_mfma_f32_16x16x32_fp8_fp8 v[100:103], a[130:131], a[42:43], v[100:103]// 00000000868C: D3F30064 1D925582
	v_mfma_f32_16x16x32_fp8_fp8 v[100:103], a[132:133], a[44:45], v[100:103]// 000000008694: D3F30064 1D925984
	buffer_load_dword v69, s[20:23], 0 offen lds               // 00000000869C: E0511000 80050045
	s_add_u32 m0, 0x800, s50                                   // 0000000086A4: 807C32FF 00000800
	v_mfma_f32_16x16x32_fp8_fp8 v[100:103], a[134:135], a[46:47], v[100:103]// 0000000086AC: D3F30064 1D925D86
	v_mfma_f32_16x16x32_fp8_fp8 v[104:107], a[128:129], a[48:49], v[104:107]// 0000000086B4: D3F30068 1DA26180
	v_mfma_f32_16x16x32_fp8_fp8 v[104:107], a[130:131], a[50:51], v[104:107]// 0000000086BC: D3F30068 1DA26582
	v_mfma_f32_16x16x32_fp8_fp8 v[104:107], a[132:133], a[52:53], v[104:107]// 0000000086C4: D3F30068 1DA26984
	v_mfma_f32_16x16x32_fp8_fp8 v[104:107], a[134:135], a[54:55], v[104:107]// 0000000086CC: D3F30068 1DA26D86
	v_mfma_f32_16x16x32_fp8_fp8 v[108:111], a[128:129], a[56:57], v[108:111]// 0000000086D4: D3F3006C 1DB27180
	buffer_load_dword v70, s[20:23], 0 offen lds               // 0000000086DC: E0511000 80050046
	s_add_u32 m0, 0x900, s50                                   // 0000000086E4: 807C32FF 00000900
	v_mfma_f32_16x16x32_fp8_fp8 v[108:111], a[130:131], a[58:59], v[108:111]// 0000000086EC: D3F3006C 1DB27582
	v_mfma_f32_16x16x32_fp8_fp8 v[108:111], a[132:133], a[60:61], v[108:111]// 0000000086F4: D3F3006C 1DB27984
	buffer_load_dword v71, s[20:23], 0 offen lds               // 0000000086FC: E0511000 80050047
	s_add_u32 m0, 0xa00, s50                                   // 000000008704: 807C32FF 00000A00
	v_mfma_f32_16x16x32_fp8_fp8 v[108:111], a[134:135], a[62:63], v[108:111]// 00000000870C: D3F3006C 1DB27D86
	buffer_load_dword v72, s[20:23], 0 offen lds               // 000000008714: E0511000 80050048
	s_add_u32 m0, 0xb00, s50                                   // 00000000871C: 807C32FF 00000B00
	buffer_load_dword v73, s[20:23], 0 offen lds               // 000000008724: E0511000 80050049
	s_add_u32 m0, 0xc00, s50                                   // 00000000872C: 807C32FF 00000C00
	buffer_load_dword v74, s[20:23], 0 offen lds               // 000000008734: E0511000 8005004A
	s_add_u32 m0, 0xd00, s50                                   // 00000000873C: 807C32FF 00000D00
	buffer_load_dword v75, s[20:23], 0 offen lds               // 000000008744: E0511000 8005004B
	s_add_u32 m0, 0xe00, s50                                   // 00000000874C: 807C32FF 00000E00
	buffer_load_dword v76, s[20:23], 0 offen lds               // 000000008754: E0511000 8005004C
	s_add_u32 m0, 0xf00, s50                                   // 00000000875C: 807C32FF 00000F00
	buffer_load_dword v77, s[20:23], 0 offen lds               // 000000008764: E0511000 8005004D
	s_add_u32 m0, 0, s48                                       // 00000000876C: 807C3080
	s_waitcnt vmcnt(18)                                        // 000000008770: BF8C4F72
	s_barrier                                                  // 000000008774: BF8A0000
	v_mfma_f32_16x16x32_fp8_fp8 v[112:115], a[136:137], a[0:1], v[112:115]// 000000008778: D3F30070 1DC20188
	buffer_load_dwordx4 a[128:131], v78, s[84:87], 0 offen     // 000000008780: E05C1000 8095804E
	v_mfma_f32_16x16x32_fp8_fp8 v[112:115], a[138:139], a[2:3], v[112:115]// 000000008788: D3F30070 1DC2058A
	v_mfma_f32_16x16x32_fp8_fp8 v[112:115], a[140:141], a[4:5], v[112:115]// 000000008790: D3F30070 1DC2098C
	ds_read_b128 a[64:67], v2 offset:16512                     // 000000008798: DBFE4080 40000002
	ds_read_b128 a[68:71], v2 offset:16576                     // 0000000087A0: DBFE40C0 44000002
	v_mfma_f32_16x16x32_fp8_fp8 v[112:115], a[142:143], a[6:7], v[112:115]// 0000000087A8: D3F30070 1DC20D8E
	v_mfma_f32_16x16x32_fp8_fp8 v[116:119], a[136:137], a[8:9], v[116:119]// 0000000087B0: D3F30074 1DD21188
	buffer_load_dwordx4 a[132:135], v78, s[84:87], 0 offen offset:1024// 0000000087B8: E05C1400 8095844E
	v_mfma_f32_16x16x32_fp8_fp8 v[116:119], a[138:139], a[10:11], v[116:119]// 0000000087C0: D3F30074 1DD2158A
	v_mfma_f32_16x16x32_fp8_fp8 v[116:119], a[140:141], a[12:13], v[116:119]// 0000000087C8: D3F30074 1DD2198C
	ds_read_b128 a[72:75], v2 offset:17024                     // 0000000087D0: DBFE4280 48000002
	ds_read_b128 a[76:79], v2 offset:17088                     // 0000000087D8: DBFE42C0 4C000002
	v_mfma_f32_16x16x32_fp8_fp8 v[116:119], a[142:143], a[14:15], v[116:119]// 0000000087E0: D3F30074 1DD21D8E
	v_mfma_f32_16x16x32_fp8_fp8 v[120:123], a[136:137], a[16:17], v[120:123]// 0000000087E8: D3F30078 1DE22188
	v_mfma_f32_16x16x32_fp8_fp8 v[120:123], a[138:139], a[18:19], v[120:123]// 0000000087F0: D3F30078 1DE2258A
	v_mfma_f32_16x16x32_fp8_fp8 v[120:123], a[140:141], a[20:21], v[120:123]// 0000000087F8: D3F30078 1DE2298C
	ds_read_b128 a[80:83], v2 offset:17536                     // 000000008800: DBFE4480 50000002
	ds_read_b128 a[84:87], v2 offset:17600                     // 000000008808: DBFE44C0 54000002
	v_mfma_f32_16x16x32_fp8_fp8 v[120:123], a[142:143], a[22:23], v[120:123]// 000000008810: D3F30078 1DE22D8E
	v_mfma_f32_16x16x32_fp8_fp8 v[124:127], a[136:137], a[24:25], v[124:127]// 000000008818: D3F3007C 1DF23188
	v_mfma_f32_16x16x32_fp8_fp8 v[124:127], a[138:139], a[26:27], v[124:127]// 000000008820: D3F3007C 1DF2358A
	v_mfma_f32_16x16x32_fp8_fp8 v[124:127], a[140:141], a[28:29], v[124:127]// 000000008828: D3F3007C 1DF2398C
	ds_read_b128 a[88:91], v2 offset:18048                     // 000000008830: DBFE4680 58000002
	ds_read_b128 a[92:95], v2 offset:18112                     // 000000008838: DBFE46C0 5C000002
	v_mfma_f32_16x16x32_fp8_fp8 v[124:127], a[142:143], a[30:31], v[124:127]// 000000008840: D3F3007C 1DF23D8E
	v_mfma_f32_16x16x32_fp8_fp8 v[128:131], a[136:137], a[32:33], v[128:131]// 000000008848: D3F30080 1E024188
	v_mfma_f32_16x16x32_fp8_fp8 v[128:131], a[138:139], a[34:35], v[128:131]// 000000008850: D3F30080 1E02458A
	v_mfma_f32_16x16x32_fp8_fp8 v[128:131], a[140:141], a[36:37], v[128:131]// 000000008858: D3F30080 1E02498C
	ds_read_b128 a[96:99], v2 offset:18560                     // 000000008860: DBFE4880 60000002
	ds_read_b128 a[100:103], v2 offset:18624                   // 000000008868: DBFE48C0 64000002
	v_mfma_f32_16x16x32_fp8_fp8 v[128:131], a[142:143], a[38:39], v[128:131]// 000000008870: D3F30080 1E024D8E
	v_mfma_f32_16x16x32_fp8_fp8 v[132:135], a[136:137], a[40:41], v[132:135]// 000000008878: D3F30084 1E125188
	v_mfma_f32_16x16x32_fp8_fp8 v[132:135], a[138:139], a[42:43], v[132:135]// 000000008880: D3F30084 1E12558A
	v_mfma_f32_16x16x32_fp8_fp8 v[132:135], a[140:141], a[44:45], v[132:135]// 000000008888: D3F30084 1E12598C
	ds_read_b128 a[104:107], v2 offset:19072                   // 000000008890: DBFE4A80 68000002
	ds_read_b128 a[108:111], v2 offset:19136                   // 000000008898: DBFE4AC0 6C000002
	v_mfma_f32_16x16x32_fp8_fp8 v[132:135], a[142:143], a[46:47], v[132:135]// 0000000088A0: D3F30084 1E125D8E
	v_mfma_f32_16x16x32_fp8_fp8 v[136:139], a[136:137], a[48:49], v[136:139]// 0000000088A8: D3F30088 1E226188
	s_add_u32 s60, 0x180, s80                                  // 0000000088B0: 803C50FF 00000180
	s_cmp_lt_u32 s60, s81                                      // 0000000088B8: BF0A513C
	s_cselect_b32 s57, s57, 0                                  // 0000000088BC: 85398039
	v_mfma_f32_16x16x32_fp8_fp8 v[136:139], a[138:139], a[50:51], v[136:139]// 0000000088C0: D3F30088 1E22658A
	s_add_u32 s60, 0x100, s80                                  // 0000000088C8: 803C50FF 00000100
	s_cmp_lt_u32 s60, s81                                      // 0000000088D0: BF0A513C
	s_cselect_b32 s58, s58, 0                                  // 0000000088D4: 853A803A
	v_mfma_f32_16x16x32_fp8_fp8 v[136:139], a[140:141], a[52:53], v[136:139]// 0000000088D8: D3F30088 1E22698C
	ds_read_b128 a[112:115], v2 offset:19584                   // 0000000088E0: DBFE4C80 70000002
	ds_read_b128 a[116:119], v2 offset:19648                   // 0000000088E8: DBFE4CC0 74000002
	s_add_u32 s60, 0x100, s80                                  // 0000000088F0: 803C50FF 00000100
	s_cmp_lt_u32 s60, s81                                      // 0000000088F8: BF0A513C
	s_cselect_b32 s83, s83, 0                                  // 0000000088FC: 85538053
	v_mfma_f32_16x16x32_fp8_fp8 v[136:139], a[142:143], a[54:55], v[136:139]// 000000008900: D3F30088 1E226D8E
	s_add_u32 s24, s58, s24                                    // 000000008908: 8018183A
	s_addc_u32 s25, 0, s25                                     // 00000000890C: 82191980
	v_mfma_f32_16x16x32_fp8_fp8 v[140:143], a[136:137], a[56:57], v[140:143]// 000000008910: D3F3008C 1E327188
	s_add_u32 s20, s57, s20                                    // 000000008918: 80141439
	s_addc_u32 s21, 0, s21                                     // 00000000891C: 82151580
	v_mfma_f32_16x16x32_fp8_fp8 v[140:143], a[138:139], a[58:59], v[140:143]// 000000008920: D3F3008C 1E32758A
	s_add_u32 s84, s83, s84                                    // 000000008928: 80545453
	s_addc_u32 s85, 0, s85                                     // 00000000892C: 82555580
	v_mfma_f32_16x16x32_fp8_fp8 v[140:143], a[140:141], a[60:61], v[140:143]// 000000008930: D3F3008C 1E32798C
	ds_read_b128 a[120:123], v2 offset:20096                   // 000000008938: DBFE4E80 78000002
	ds_read_b128 a[124:127], v2 offset:20160                   // 000000008940: DBFE4EC0 7C000002
	v_mfma_f32_16x16x32_fp8_fp8 v[140:143], a[142:143], a[62:63], v[140:143]// 000000008948: D3F3008C 1E327D8E
	s_addk_i32 s80, 0x80                                       // 000000008950: B7500080
	s_cmp_lt_i32 s80, s81                                      // 000000008954: BF045150
	s_cbranch_scc0 label_1CD6                                  // 000000008958: BF8404FC
	s_waitcnt vmcnt(18) lgkmcnt(0)                             // 00000000895C: BF8C4072
	v_mfma_f32_16x16x32_fp8_fp8 v[80:83], a[144:145], a[64:65], v[80:83]// 000000008960: D3F30050 1D428190
	buffer_load_dwordx4 a[136:139], v78, s[24:27], 0 offen     // 000000008968: E05C1000 8086884E
	v_mfma_f32_16x16x32_fp8_fp8 v[80:83], a[146:147], a[66:67], v[80:83]// 000000008970: D3F30050 1D428592
	v_mfma_f32_16x16x32_fp8_fp8 v[80:83], a[148:149], a[68:69], v[80:83]// 000000008978: D3F30050 1D428994
	v_mfma_f32_16x16x32_fp8_fp8 v[80:83], a[150:151], a[70:71], v[80:83]// 000000008980: D3F30050 1D428D96
	v_mfma_f32_16x16x32_fp8_fp8 v[84:87], a[144:145], a[72:73], v[84:87]// 000000008988: D3F30054 1D529190
	buffer_load_dwordx4 a[140:143], v78, s[24:27], 0 offen offset:1024// 000000008990: E05C1400 80868C4E
	buffer_load_dword v62, s[20:23], 0 offen lds               // 000000008998: E0511000 8005003E
	s_add_u32 m0, 0x100, s48                                   // 0000000089A0: 807C30FF 00000100
	v_mfma_f32_16x16x32_fp8_fp8 v[84:87], a[146:147], a[74:75], v[84:87]// 0000000089A8: D3F30054 1D529592
	v_mfma_f32_16x16x32_fp8_fp8 v[84:87], a[148:149], a[76:77], v[84:87]// 0000000089B0: D3F30054 1D529994
	buffer_load_dword v63, s[20:23], 0 offen lds               // 0000000089B8: E0511000 8005003F
	s_add_u32 m0, 0x200, s48                                   // 0000000089C0: 807C30FF 00000200
	v_mfma_f32_16x16x32_fp8_fp8 v[84:87], a[150:151], a[78:79], v[84:87]// 0000000089C8: D3F30054 1D529D96
	v_mfma_f32_16x16x32_fp8_fp8 v[88:91], a[144:145], a[80:81], v[88:91]// 0000000089D0: D3F30058 1D62A190
	buffer_load_dword v64, s[20:23], 0 offen lds               // 0000000089D8: E0511000 80050040
	s_add_u32 m0, 0x300, s48                                   // 0000000089E0: 807C30FF 00000300
	v_mfma_f32_16x16x32_fp8_fp8 v[88:91], a[146:147], a[82:83], v[88:91]// 0000000089E8: D3F30058 1D62A592
	v_mfma_f32_16x16x32_fp8_fp8 v[88:91], a[148:149], a[84:85], v[88:91]// 0000000089F0: D3F30058 1D62A994
	buffer_load_dword v65, s[20:23], 0 offen lds               // 0000000089F8: E0511000 80050041
	s_add_u32 m0, 0x400, s48                                   // 000000008A00: 807C30FF 00000400
	v_mfma_f32_16x16x32_fp8_fp8 v[88:91], a[150:151], a[86:87], v[88:91]// 000000008A08: D3F30058 1D62AD96
	v_mfma_f32_16x16x32_fp8_fp8 v[92:95], a[144:145], a[88:89], v[92:95]// 000000008A10: D3F3005C 1D72B190
	buffer_load_dword v66, s[20:23], 0 offen lds               // 000000008A18: E0511000 80050042
	s_add_u32 m0, 0x500, s48                                   // 000000008A20: 807C30FF 00000500
	v_mfma_f32_16x16x32_fp8_fp8 v[92:95], a[146:147], a[90:91], v[92:95]// 000000008A28: D3F3005C 1D72B592
	v_mfma_f32_16x16x32_fp8_fp8 v[92:95], a[148:149], a[92:93], v[92:95]// 000000008A30: D3F3005C 1D72B994
	buffer_load_dword v67, s[20:23], 0 offen lds               // 000000008A38: E0511000 80050043
	s_add_u32 m0, 0x600, s48                                   // 000000008A40: 807C30FF 00000600
	v_mfma_f32_16x16x32_fp8_fp8 v[92:95], a[150:151], a[94:95], v[92:95]// 000000008A48: D3F3005C 1D72BD96
	v_mfma_f32_16x16x32_fp8_fp8 v[96:99], a[144:145], a[96:97], v[96:99]// 000000008A50: D3F30060 1D82C190
	v_mfma_f32_16x16x32_fp8_fp8 v[96:99], a[146:147], a[98:99], v[96:99]// 000000008A58: D3F30060 1D82C592
	v_mfma_f32_16x16x32_fp8_fp8 v[96:99], a[148:149], a[100:101], v[96:99]// 000000008A60: D3F30060 1D82C994
	v_mfma_f32_16x16x32_fp8_fp8 v[96:99], a[150:151], a[102:103], v[96:99]// 000000008A68: D3F30060 1D82CD96
	v_mfma_f32_16x16x32_fp8_fp8 v[100:103], a[144:145], a[104:105], v[100:103]// 000000008A70: D3F30064 1D92D190
	buffer_load_dword v68, s[20:23], 0 offen lds               // 000000008A78: E0511000 80050044
	s_add_u32 m0, 0x700, s48                                   // 000000008A80: 807C30FF 00000700
	v_mfma_f32_16x16x32_fp8_fp8 v[100:103], a[146:147], a[106:107], v[100:103]// 000000008A88: D3F30064 1D92D592
	v_mfma_f32_16x16x32_fp8_fp8 v[100:103], a[148:149], a[108:109], v[100:103]// 000000008A90: D3F30064 1D92D994
	buffer_load_dword v69, s[20:23], 0 offen lds               // 000000008A98: E0511000 80050045
	s_add_u32 m0, 0x800, s48                                   // 000000008AA0: 807C30FF 00000800
	v_mfma_f32_16x16x32_fp8_fp8 v[100:103], a[150:151], a[110:111], v[100:103]// 000000008AA8: D3F30064 1D92DD96
	v_mfma_f32_16x16x32_fp8_fp8 v[104:107], a[144:145], a[112:113], v[104:107]// 000000008AB0: D3F30068 1DA2E190
	v_mfma_f32_16x16x32_fp8_fp8 v[104:107], a[146:147], a[114:115], v[104:107]// 000000008AB8: D3F30068 1DA2E592
	v_mfma_f32_16x16x32_fp8_fp8 v[104:107], a[148:149], a[116:117], v[104:107]// 000000008AC0: D3F30068 1DA2E994
	v_mfma_f32_16x16x32_fp8_fp8 v[104:107], a[150:151], a[118:119], v[104:107]// 000000008AC8: D3F30068 1DA2ED96
	v_mfma_f32_16x16x32_fp8_fp8 v[108:111], a[144:145], a[120:121], v[108:111]// 000000008AD0: D3F3006C 1DB2F190
	buffer_load_dword v70, s[20:23], 0 offen lds               // 000000008AD8: E0511000 80050046
	s_add_u32 m0, 0x900, s48                                   // 000000008AE0: 807C30FF 00000900
	v_mfma_f32_16x16x32_fp8_fp8 v[108:111], a[146:147], a[122:123], v[108:111]// 000000008AE8: D3F3006C 1DB2F592
	v_mfma_f32_16x16x32_fp8_fp8 v[108:111], a[148:149], a[124:125], v[108:111]// 000000008AF0: D3F3006C 1DB2F994
	buffer_load_dword v71, s[20:23], 0 offen lds               // 000000008AF8: E0511000 80050047
	s_add_u32 m0, 0xa00, s48                                   // 000000008B00: 807C30FF 00000A00
	v_mfma_f32_16x16x32_fp8_fp8 v[108:111], a[150:151], a[126:127], v[108:111]// 000000008B08: D3F3006C 1DB2FD96
	buffer_load_dword v72, s[20:23], 0 offen lds               // 000000008B10: E0511000 80050048
	s_add_u32 m0, 0xb00, s48                                   // 000000008B18: 807C30FF 00000B00
	buffer_load_dword v73, s[20:23], 0 offen lds               // 000000008B20: E0511000 80050049
	s_add_u32 m0, 0xc00, s48                                   // 000000008B28: 807C30FF 00000C00
	buffer_load_dword v74, s[20:23], 0 offen lds               // 000000008B30: E0511000 8005004A
	s_add_u32 m0, 0xd00, s48                                   // 000000008B38: 807C30FF 00000D00
	buffer_load_dword v75, s[20:23], 0 offen lds               // 000000008B40: E0511000 8005004B
	s_add_u32 m0, 0xe00, s48                                   // 000000008B48: 807C30FF 00000E00
	buffer_load_dword v76, s[20:23], 0 offen lds               // 000000008B50: E0511000 8005004C
	s_add_u32 m0, 0xf00, s48                                   // 000000008B58: 807C30FF 00000F00
	buffer_load_dword v77, s[20:23], 0 offen lds               // 000000008B60: E0511000 8005004D
	s_add_u32 m0, 0, s49                                       // 000000008B68: 807C3180
	s_waitcnt vmcnt(18)                                        // 000000008B6C: BF8C4F72
	s_barrier                                                  // 000000008B70: BF8A0000
	v_mfma_f32_16x16x32_fp8_fp8 v[112:115], a[128:129], a[64:65], v[112:115]// 000000008B74: D3F30070 1DC28180
	buffer_load_dwordx4 a[144:147], v78, s[84:87], 0 offen     // 000000008B7C: E05C1000 8095904E
	v_mfma_f32_16x16x32_fp8_fp8 v[112:115], a[130:131], a[66:67], v[112:115]// 000000008B84: D3F30070 1DC28582
	v_mfma_f32_16x16x32_fp8_fp8 v[112:115], a[132:133], a[68:69], v[112:115]// 000000008B8C: D3F30070 1DC28984
	ds_read_b128 a[0:3], v2 offset:33024                       // 000000008B94: DBFE8100 00000002
	ds_read_b128 a[4:7], v2 offset:33088                       // 000000008B9C: DBFE8140 04000002
	v_mfma_f32_16x16x32_fp8_fp8 v[112:115], a[134:135], a[70:71], v[112:115]// 000000008BA4: D3F30070 1DC28D86
	v_mfma_f32_16x16x32_fp8_fp8 v[116:119], a[128:129], a[72:73], v[116:119]// 000000008BAC: D3F30074 1DD29180
	buffer_load_dwordx4 a[148:151], v78, s[84:87], 0 offen offset:1024// 000000008BB4: E05C1400 8095944E
	v_mfma_f32_16x16x32_fp8_fp8 v[116:119], a[130:131], a[74:75], v[116:119]// 000000008BBC: D3F30074 1DD29582
	v_mfma_f32_16x16x32_fp8_fp8 v[116:119], a[132:133], a[76:77], v[116:119]// 000000008BC4: D3F30074 1DD29984
	ds_read_b128 a[8:11], v2 offset:33536                      // 000000008BCC: DBFE8300 08000002
	ds_read_b128 a[12:15], v2 offset:33600                     // 000000008BD4: DBFE8340 0C000002
	v_mfma_f32_16x16x32_fp8_fp8 v[116:119], a[134:135], a[78:79], v[116:119]// 000000008BDC: D3F30074 1DD29D86
	v_mfma_f32_16x16x32_fp8_fp8 v[120:123], a[128:129], a[80:81], v[120:123]// 000000008BE4: D3F30078 1DE2A180
	v_mfma_f32_16x16x32_fp8_fp8 v[120:123], a[130:131], a[82:83], v[120:123]// 000000008BEC: D3F30078 1DE2A582
	v_mfma_f32_16x16x32_fp8_fp8 v[120:123], a[132:133], a[84:85], v[120:123]// 000000008BF4: D3F30078 1DE2A984
	ds_read_b128 a[16:19], v2 offset:34048                     // 000000008BFC: DBFE8500 10000002
	ds_read_b128 a[20:23], v2 offset:34112                     // 000000008C04: DBFE8540 14000002
	v_mfma_f32_16x16x32_fp8_fp8 v[120:123], a[134:135], a[86:87], v[120:123]// 000000008C0C: D3F30078 1DE2AD86
	v_mfma_f32_16x16x32_fp8_fp8 v[124:127], a[128:129], a[88:89], v[124:127]// 000000008C14: D3F3007C 1DF2B180
	v_mfma_f32_16x16x32_fp8_fp8 v[124:127], a[130:131], a[90:91], v[124:127]// 000000008C1C: D3F3007C 1DF2B582
	v_mfma_f32_16x16x32_fp8_fp8 v[124:127], a[132:133], a[92:93], v[124:127]// 000000008C24: D3F3007C 1DF2B984
	ds_read_b128 a[24:27], v2 offset:34560                     // 000000008C2C: DBFE8700 18000002
	ds_read_b128 a[28:31], v2 offset:34624                     // 000000008C34: DBFE8740 1C000002
	v_mfma_f32_16x16x32_fp8_fp8 v[124:127], a[134:135], a[94:95], v[124:127]// 000000008C3C: D3F3007C 1DF2BD86
	v_mfma_f32_16x16x32_fp8_fp8 v[128:131], a[128:129], a[96:97], v[128:131]// 000000008C44: D3F30080 1E02C180
	v_mfma_f32_16x16x32_fp8_fp8 v[128:131], a[130:131], a[98:99], v[128:131]// 000000008C4C: D3F30080 1E02C582
	v_mfma_f32_16x16x32_fp8_fp8 v[128:131], a[132:133], a[100:101], v[128:131]// 000000008C54: D3F30080 1E02C984
	ds_read_b128 a[32:35], v2 offset:35072                     // 000000008C5C: DBFE8900 20000002
	ds_read_b128 a[36:39], v2 offset:35136                     // 000000008C64: DBFE8940 24000002
	v_mfma_f32_16x16x32_fp8_fp8 v[128:131], a[134:135], a[102:103], v[128:131]// 000000008C6C: D3F30080 1E02CD86
	v_mfma_f32_16x16x32_fp8_fp8 v[132:135], a[128:129], a[104:105], v[132:135]// 000000008C74: D3F30084 1E12D180
	v_mfma_f32_16x16x32_fp8_fp8 v[132:135], a[130:131], a[106:107], v[132:135]// 000000008C7C: D3F30084 1E12D582
	v_mfma_f32_16x16x32_fp8_fp8 v[132:135], a[132:133], a[108:109], v[132:135]// 000000008C84: D3F30084 1E12D984
	ds_read_b128 a[40:43], v2 offset:35584                     // 000000008C8C: DBFE8B00 28000002
	ds_read_b128 a[44:47], v2 offset:35648                     // 000000008C94: DBFE8B40 2C000002
	v_mfma_f32_16x16x32_fp8_fp8 v[132:135], a[134:135], a[110:111], v[132:135]// 000000008C9C: D3F30084 1E12DD86
	v_mfma_f32_16x16x32_fp8_fp8 v[136:139], a[128:129], a[112:113], v[136:139]// 000000008CA4: D3F30088 1E22E180
	s_add_u32 s60, 0x180, s80                                  // 000000008CAC: 803C50FF 00000180
	s_cmp_lt_u32 s60, s81                                      // 000000008CB4: BF0A513C
	s_cselect_b32 s57, s57, 0                                  // 000000008CB8: 85398039
	v_mfma_f32_16x16x32_fp8_fp8 v[136:139], a[130:131], a[114:115], v[136:139]// 000000008CBC: D3F30088 1E22E582
	s_add_u32 s60, 0x100, s80                                  // 000000008CC4: 803C50FF 00000100
	s_cmp_lt_u32 s60, s81                                      // 000000008CCC: BF0A513C
	s_cselect_b32 s58, s58, 0                                  // 000000008CD0: 853A803A
	v_mfma_f32_16x16x32_fp8_fp8 v[136:139], a[132:133], a[116:117], v[136:139]// 000000008CD4: D3F30088 1E22E984
	ds_read_b128 a[48:51], v2 offset:36096                     // 000000008CDC: DBFE8D00 30000002
	ds_read_b128 a[52:55], v2 offset:36160                     // 000000008CE4: DBFE8D40 34000002
	s_add_u32 s60, 0x100, s80                                  // 000000008CEC: 803C50FF 00000100
	s_cmp_lt_u32 s60, s81                                      // 000000008CF4: BF0A513C
	s_cselect_b32 s83, s83, 0                                  // 000000008CF8: 85538053
	v_mfma_f32_16x16x32_fp8_fp8 v[136:139], a[134:135], a[118:119], v[136:139]// 000000008CFC: D3F30088 1E22ED86
	s_add_u32 s24, s58, s24                                    // 000000008D04: 8018183A
	s_addc_u32 s25, 0, s25                                     // 000000008D08: 82191980
	v_mfma_f32_16x16x32_fp8_fp8 v[140:143], a[128:129], a[120:121], v[140:143]// 000000008D0C: D3F3008C 1E32F180
	s_add_u32 s20, s57, s20                                    // 000000008D14: 80141439
	s_addc_u32 s21, 0, s21                                     // 000000008D18: 82151580
	v_mfma_f32_16x16x32_fp8_fp8 v[140:143], a[130:131], a[122:123], v[140:143]// 000000008D1C: D3F3008C 1E32F582
	s_add_u32 s84, s83, s84                                    // 000000008D24: 80545453
	s_addc_u32 s85, 0, s85                                     // 000000008D28: 82555580
	v_mfma_f32_16x16x32_fp8_fp8 v[140:143], a[132:133], a[124:125], v[140:143]// 000000008D2C: D3F3008C 1E32F984
	ds_read_b128 a[56:59], v2 offset:36608                     // 000000008D34: DBFE8F00 38000002
	ds_read_b128 a[60:63], v2 offset:36672                     // 000000008D3C: DBFE8F40 3C000002
	v_mfma_f32_16x16x32_fp8_fp8 v[140:143], a[134:135], a[126:127], v[140:143]// 000000008D44: D3F3008C 1E32FD86
	s_addk_i32 s80, 0x80                                       // 000000008D4C: B7500080
	s_cmp_lt_i32 s80, s81                                      // 000000008D50: BF045150
	s_cbranch_scc0 label_1CD6                                  // 000000008D54: BF8403FD
	s_waitcnt vmcnt(18) lgkmcnt(0)                             // 000000008D58: BF8C4072
	v_mfma_f32_16x16x32_fp8_fp8 v[80:83], a[136:137], a[0:1], v[80:83]// 000000008D5C: D3F30050 1D420188
	buffer_load_dwordx4 a[128:131], v78, s[24:27], 0 offen     // 000000008D64: E05C1000 8086804E
	v_mfma_f32_16x16x32_fp8_fp8 v[80:83], a[138:139], a[2:3], v[80:83]// 000000008D6C: D3F30050 1D42058A
	v_mfma_f32_16x16x32_fp8_fp8 v[80:83], a[140:141], a[4:5], v[80:83]// 000000008D74: D3F30050 1D42098C
	v_mfma_f32_16x16x32_fp8_fp8 v[80:83], a[142:143], a[6:7], v[80:83]// 000000008D7C: D3F30050 1D420D8E
	v_mfma_f32_16x16x32_fp8_fp8 v[84:87], a[136:137], a[8:9], v[84:87]// 000000008D84: D3F30054 1D521188
	buffer_load_dwordx4 a[132:135], v78, s[24:27], 0 offen offset:1024// 000000008D8C: E05C1400 8086844E
	buffer_load_dword v62, s[20:23], 0 offen lds               // 000000008D94: E0511000 8005003E
	s_add_u32 m0, 0x100, s49                                   // 000000008D9C: 807C31FF 00000100
	v_mfma_f32_16x16x32_fp8_fp8 v[84:87], a[138:139], a[10:11], v[84:87]// 000000008DA4: D3F30054 1D52158A
	v_mfma_f32_16x16x32_fp8_fp8 v[84:87], a[140:141], a[12:13], v[84:87]// 000000008DAC: D3F30054 1D52198C
	buffer_load_dword v63, s[20:23], 0 offen lds               // 000000008DB4: E0511000 8005003F
	s_add_u32 m0, 0x200, s49                                   // 000000008DBC: 807C31FF 00000200
	v_mfma_f32_16x16x32_fp8_fp8 v[84:87], a[142:143], a[14:15], v[84:87]// 000000008DC4: D3F30054 1D521D8E
	v_mfma_f32_16x16x32_fp8_fp8 v[88:91], a[136:137], a[16:17], v[88:91]// 000000008DCC: D3F30058 1D622188
	buffer_load_dword v64, s[20:23], 0 offen lds               // 000000008DD4: E0511000 80050040
	s_add_u32 m0, 0x300, s49                                   // 000000008DDC: 807C31FF 00000300
	v_mfma_f32_16x16x32_fp8_fp8 v[88:91], a[138:139], a[18:19], v[88:91]// 000000008DE4: D3F30058 1D62258A
	v_mfma_f32_16x16x32_fp8_fp8 v[88:91], a[140:141], a[20:21], v[88:91]// 000000008DEC: D3F30058 1D62298C
	buffer_load_dword v65, s[20:23], 0 offen lds               // 000000008DF4: E0511000 80050041
	s_add_u32 m0, 0x400, s49                                   // 000000008DFC: 807C31FF 00000400
	v_mfma_f32_16x16x32_fp8_fp8 v[88:91], a[142:143], a[22:23], v[88:91]// 000000008E04: D3F30058 1D622D8E
	v_mfma_f32_16x16x32_fp8_fp8 v[92:95], a[136:137], a[24:25], v[92:95]// 000000008E0C: D3F3005C 1D723188
	buffer_load_dword v66, s[20:23], 0 offen lds               // 000000008E14: E0511000 80050042
	s_add_u32 m0, 0x500, s49                                   // 000000008E1C: 807C31FF 00000500
	v_mfma_f32_16x16x32_fp8_fp8 v[92:95], a[138:139], a[26:27], v[92:95]// 000000008E24: D3F3005C 1D72358A
	v_mfma_f32_16x16x32_fp8_fp8 v[92:95], a[140:141], a[28:29], v[92:95]// 000000008E2C: D3F3005C 1D72398C
	buffer_load_dword v67, s[20:23], 0 offen lds               // 000000008E34: E0511000 80050043
	s_add_u32 m0, 0x600, s49                                   // 000000008E3C: 807C31FF 00000600
	v_mfma_f32_16x16x32_fp8_fp8 v[92:95], a[142:143], a[30:31], v[92:95]// 000000008E44: D3F3005C 1D723D8E
	v_mfma_f32_16x16x32_fp8_fp8 v[96:99], a[136:137], a[32:33], v[96:99]// 000000008E4C: D3F30060 1D824188
	v_mfma_f32_16x16x32_fp8_fp8 v[96:99], a[138:139], a[34:35], v[96:99]// 000000008E54: D3F30060 1D82458A
	v_mfma_f32_16x16x32_fp8_fp8 v[96:99], a[140:141], a[36:37], v[96:99]// 000000008E5C: D3F30060 1D82498C
	v_mfma_f32_16x16x32_fp8_fp8 v[96:99], a[142:143], a[38:39], v[96:99]// 000000008E64: D3F30060 1D824D8E
	v_mfma_f32_16x16x32_fp8_fp8 v[100:103], a[136:137], a[40:41], v[100:103]// 000000008E6C: D3F30064 1D925188
	buffer_load_dword v68, s[20:23], 0 offen lds               // 000000008E74: E0511000 80050044
	s_add_u32 m0, 0x700, s49                                   // 000000008E7C: 807C31FF 00000700
	v_mfma_f32_16x16x32_fp8_fp8 v[100:103], a[138:139], a[42:43], v[100:103]// 000000008E84: D3F30064 1D92558A
	v_mfma_f32_16x16x32_fp8_fp8 v[100:103], a[140:141], a[44:45], v[100:103]// 000000008E8C: D3F30064 1D92598C
	buffer_load_dword v69, s[20:23], 0 offen lds               // 000000008E94: E0511000 80050045
	s_add_u32 m0, 0x800, s49                                   // 000000008E9C: 807C31FF 00000800
	v_mfma_f32_16x16x32_fp8_fp8 v[100:103], a[142:143], a[46:47], v[100:103]// 000000008EA4: D3F30064 1D925D8E
	v_mfma_f32_16x16x32_fp8_fp8 v[104:107], a[136:137], a[48:49], v[104:107]// 000000008EAC: D3F30068 1DA26188
	v_mfma_f32_16x16x32_fp8_fp8 v[104:107], a[138:139], a[50:51], v[104:107]// 000000008EB4: D3F30068 1DA2658A
	v_mfma_f32_16x16x32_fp8_fp8 v[104:107], a[140:141], a[52:53], v[104:107]// 000000008EBC: D3F30068 1DA2698C
	v_mfma_f32_16x16x32_fp8_fp8 v[104:107], a[142:143], a[54:55], v[104:107]// 000000008EC4: D3F30068 1DA26D8E
	v_mfma_f32_16x16x32_fp8_fp8 v[108:111], a[136:137], a[56:57], v[108:111]// 000000008ECC: D3F3006C 1DB27188
	buffer_load_dword v70, s[20:23], 0 offen lds               // 000000008ED4: E0511000 80050046
	s_add_u32 m0, 0x900, s49                                   // 000000008EDC: 807C31FF 00000900
	v_mfma_f32_16x16x32_fp8_fp8 v[108:111], a[138:139], a[58:59], v[108:111]// 000000008EE4: D3F3006C 1DB2758A
	v_mfma_f32_16x16x32_fp8_fp8 v[108:111], a[140:141], a[60:61], v[108:111]// 000000008EEC: D3F3006C 1DB2798C
	buffer_load_dword v71, s[20:23], 0 offen lds               // 000000008EF4: E0511000 80050047
	s_add_u32 m0, 0xa00, s49                                   // 000000008EFC: 807C31FF 00000A00
	v_mfma_f32_16x16x32_fp8_fp8 v[108:111], a[142:143], a[62:63], v[108:111]// 000000008F04: D3F3006C 1DB27D8E
	buffer_load_dword v72, s[20:23], 0 offen lds               // 000000008F0C: E0511000 80050048
	s_add_u32 m0, 0xb00, s49                                   // 000000008F14: 807C31FF 00000B00
	buffer_load_dword v73, s[20:23], 0 offen lds               // 000000008F1C: E0511000 80050049
	s_add_u32 m0, 0xc00, s49                                   // 000000008F24: 807C31FF 00000C00
	buffer_load_dword v74, s[20:23], 0 offen lds               // 000000008F2C: E0511000 8005004A
	s_add_u32 m0, 0xd00, s49                                   // 000000008F34: 807C31FF 00000D00
	buffer_load_dword v75, s[20:23], 0 offen lds               // 000000008F3C: E0511000 8005004B
	s_add_u32 m0, 0xe00, s49                                   // 000000008F44: 807C31FF 00000E00
	buffer_load_dword v76, s[20:23], 0 offen lds               // 000000008F4C: E0511000 8005004C
	s_add_u32 m0, 0xf00, s49                                   // 000000008F54: 807C31FF 00000F00
	buffer_load_dword v77, s[20:23], 0 offen lds               // 000000008F5C: E0511000 8005004D
	s_add_u32 m0, 0, s50                                       // 000000008F64: 807C3280
	s_waitcnt vmcnt(18)                                        // 000000008F68: BF8C4F72
	s_barrier                                                  // 000000008F6C: BF8A0000
	v_mfma_f32_16x16x32_fp8_fp8 v[112:115], a[144:145], a[0:1], v[112:115]// 000000008F70: D3F30070 1DC20190
	buffer_load_dwordx4 a[136:139], v78, s[84:87], 0 offen     // 000000008F78: E05C1000 8095884E
	v_mfma_f32_16x16x32_fp8_fp8 v[112:115], a[146:147], a[2:3], v[112:115]// 000000008F80: D3F30070 1DC20592
	v_mfma_f32_16x16x32_fp8_fp8 v[112:115], a[148:149], a[4:5], v[112:115]// 000000008F88: D3F30070 1DC20994
	ds_read_b128 a[64:67], v2                                  // 000000008F90: DBFE0000 40000002
	ds_read_b128 a[68:71], v2 offset:64                        // 000000008F98: DBFE0040 44000002
	v_mfma_f32_16x16x32_fp8_fp8 v[112:115], a[150:151], a[6:7], v[112:115]// 000000008FA0: D3F30070 1DC20D96
	v_mfma_f32_16x16x32_fp8_fp8 v[116:119], a[144:145], a[8:9], v[116:119]// 000000008FA8: D3F30074 1DD21190
	buffer_load_dwordx4 a[140:143], v78, s[84:87], 0 offen offset:1024// 000000008FB0: E05C1400 80958C4E
	v_mfma_f32_16x16x32_fp8_fp8 v[116:119], a[146:147], a[10:11], v[116:119]// 000000008FB8: D3F30074 1DD21592
	v_mfma_f32_16x16x32_fp8_fp8 v[116:119], a[148:149], a[12:13], v[116:119]// 000000008FC0: D3F30074 1DD21994
	ds_read_b128 a[72:75], v2 offset:512                       // 000000008FC8: DBFE0200 48000002
	ds_read_b128 a[76:79], v2 offset:576                       // 000000008FD0: DBFE0240 4C000002
	v_mfma_f32_16x16x32_fp8_fp8 v[116:119], a[150:151], a[14:15], v[116:119]// 000000008FD8: D3F30074 1DD21D96
	v_mfma_f32_16x16x32_fp8_fp8 v[120:123], a[144:145], a[16:17], v[120:123]// 000000008FE0: D3F30078 1DE22190
	v_mfma_f32_16x16x32_fp8_fp8 v[120:123], a[146:147], a[18:19], v[120:123]// 000000008FE8: D3F30078 1DE22592
	v_mfma_f32_16x16x32_fp8_fp8 v[120:123], a[148:149], a[20:21], v[120:123]// 000000008FF0: D3F30078 1DE22994
	ds_read_b128 a[80:83], v2 offset:1024                      // 000000008FF8: DBFE0400 50000002
	ds_read_b128 a[84:87], v2 offset:1088                      // 000000009000: DBFE0440 54000002
	v_mfma_f32_16x16x32_fp8_fp8 v[120:123], a[150:151], a[22:23], v[120:123]// 000000009008: D3F30078 1DE22D96
	v_mfma_f32_16x16x32_fp8_fp8 v[124:127], a[144:145], a[24:25], v[124:127]// 000000009010: D3F3007C 1DF23190
	v_mfma_f32_16x16x32_fp8_fp8 v[124:127], a[146:147], a[26:27], v[124:127]// 000000009018: D3F3007C 1DF23592
	v_mfma_f32_16x16x32_fp8_fp8 v[124:127], a[148:149], a[28:29], v[124:127]// 000000009020: D3F3007C 1DF23994
	ds_read_b128 a[88:91], v2 offset:1536                      // 000000009028: DBFE0600 58000002
	ds_read_b128 a[92:95], v2 offset:1600                      // 000000009030: DBFE0640 5C000002
	v_mfma_f32_16x16x32_fp8_fp8 v[124:127], a[150:151], a[30:31], v[124:127]// 000000009038: D3F3007C 1DF23D96
	v_mfma_f32_16x16x32_fp8_fp8 v[128:131], a[144:145], a[32:33], v[128:131]// 000000009040: D3F30080 1E024190
	v_mfma_f32_16x16x32_fp8_fp8 v[128:131], a[146:147], a[34:35], v[128:131]// 000000009048: D3F30080 1E024592
	v_mfma_f32_16x16x32_fp8_fp8 v[128:131], a[148:149], a[36:37], v[128:131]// 000000009050: D3F30080 1E024994
	ds_read_b128 a[96:99], v2 offset:2048                      // 000000009058: DBFE0800 60000002
	ds_read_b128 a[100:103], v2 offset:2112                    // 000000009060: DBFE0840 64000002
	v_mfma_f32_16x16x32_fp8_fp8 v[128:131], a[150:151], a[38:39], v[128:131]// 000000009068: D3F30080 1E024D96
	v_mfma_f32_16x16x32_fp8_fp8 v[132:135], a[144:145], a[40:41], v[132:135]// 000000009070: D3F30084 1E125190
	v_mfma_f32_16x16x32_fp8_fp8 v[132:135], a[146:147], a[42:43], v[132:135]// 000000009078: D3F30084 1E125592
	v_mfma_f32_16x16x32_fp8_fp8 v[132:135], a[148:149], a[44:45], v[132:135]// 000000009080: D3F30084 1E125994
	ds_read_b128 a[104:107], v2 offset:2560                    // 000000009088: DBFE0A00 68000002
	ds_read_b128 a[108:111], v2 offset:2624                    // 000000009090: DBFE0A40 6C000002
	v_mfma_f32_16x16x32_fp8_fp8 v[132:135], a[150:151], a[46:47], v[132:135]// 000000009098: D3F30084 1E125D96
	v_mfma_f32_16x16x32_fp8_fp8 v[136:139], a[144:145], a[48:49], v[136:139]// 0000000090A0: D3F30088 1E226190
	s_add_u32 s60, 0x180, s80                                  // 0000000090A8: 803C50FF 00000180
	s_cmp_lt_u32 s60, s81                                      // 0000000090B0: BF0A513C
	s_cselect_b32 s57, s57, 0                                  // 0000000090B4: 85398039
	v_mfma_f32_16x16x32_fp8_fp8 v[136:139], a[146:147], a[50:51], v[136:139]// 0000000090B8: D3F30088 1E226592
	s_add_u32 s60, 0x100, s80                                  // 0000000090C0: 803C50FF 00000100
	s_cmp_lt_u32 s60, s81                                      // 0000000090C8: BF0A513C
	s_cselect_b32 s58, s58, 0                                  // 0000000090CC: 853A803A
	v_mfma_f32_16x16x32_fp8_fp8 v[136:139], a[148:149], a[52:53], v[136:139]// 0000000090D0: D3F30088 1E226994
	ds_read_b128 a[112:115], v2 offset:3072                    // 0000000090D8: DBFE0C00 70000002
	ds_read_b128 a[116:119], v2 offset:3136                    // 0000000090E0: DBFE0C40 74000002
	s_add_u32 s60, 0x100, s80                                  // 0000000090E8: 803C50FF 00000100
	s_cmp_lt_u32 s60, s81                                      // 0000000090F0: BF0A513C
	s_cselect_b32 s83, s83, 0                                  // 0000000090F4: 85538053
	v_mfma_f32_16x16x32_fp8_fp8 v[136:139], a[150:151], a[54:55], v[136:139]// 0000000090F8: D3F30088 1E226D96
	s_add_u32 s24, s58, s24                                    // 000000009100: 8018183A
	s_addc_u32 s25, 0, s25                                     // 000000009104: 82191980
	v_mfma_f32_16x16x32_fp8_fp8 v[140:143], a[144:145], a[56:57], v[140:143]// 000000009108: D3F3008C 1E327190
	s_add_u32 s20, s57, s20                                    // 000000009110: 80141439
	s_addc_u32 s21, 0, s21                                     // 000000009114: 82151580
	v_mfma_f32_16x16x32_fp8_fp8 v[140:143], a[146:147], a[58:59], v[140:143]// 000000009118: D3F3008C 1E327592
	s_add_u32 s84, s83, s84                                    // 000000009120: 80545453
	s_addc_u32 s85, 0, s85                                     // 000000009124: 82555580
	v_mfma_f32_16x16x32_fp8_fp8 v[140:143], a[148:149], a[60:61], v[140:143]// 000000009128: D3F3008C 1E327994
	ds_read_b128 a[120:123], v2 offset:3584                    // 000000009130: DBFE0E00 78000002
	ds_read_b128 a[124:127], v2 offset:3648                    // 000000009138: DBFE0E40 7C000002
	v_mfma_f32_16x16x32_fp8_fp8 v[140:143], a[150:151], a[62:63], v[140:143]// 000000009140: D3F3008C 1E327D96
	s_addk_i32 s80, 0x80                                       // 000000009148: B7500080
	s_cmp_lt_i32 s80, s81                                      // 00000000914C: BF045150
	s_cbranch_scc0 label_1CD6                                  // 000000009150: BF8402FE
	s_waitcnt vmcnt(18) lgkmcnt(0)                             // 000000009154: BF8C4072
	v_mfma_f32_16x16x32_fp8_fp8 v[80:83], a[128:129], a[64:65], v[80:83]// 000000009158: D3F30050 1D428180
	buffer_load_dwordx4 a[144:147], v78, s[24:27], 0 offen     // 000000009160: E05C1000 8086904E
	v_mfma_f32_16x16x32_fp8_fp8 v[80:83], a[130:131], a[66:67], v[80:83]// 000000009168: D3F30050 1D428582
	v_mfma_f32_16x16x32_fp8_fp8 v[80:83], a[132:133], a[68:69], v[80:83]// 000000009170: D3F30050 1D428984
	v_mfma_f32_16x16x32_fp8_fp8 v[80:83], a[134:135], a[70:71], v[80:83]// 000000009178: D3F30050 1D428D86
	v_mfma_f32_16x16x32_fp8_fp8 v[84:87], a[128:129], a[72:73], v[84:87]// 000000009180: D3F30054 1D529180
	buffer_load_dwordx4 a[148:151], v78, s[24:27], 0 offen offset:1024// 000000009188: E05C1400 8086944E
	buffer_load_dword v62, s[20:23], 0 offen lds               // 000000009190: E0511000 8005003E
	s_add_u32 m0, 0x100, s50                                   // 000000009198: 807C32FF 00000100
	v_mfma_f32_16x16x32_fp8_fp8 v[84:87], a[130:131], a[74:75], v[84:87]// 0000000091A0: D3F30054 1D529582
	v_mfma_f32_16x16x32_fp8_fp8 v[84:87], a[132:133], a[76:77], v[84:87]// 0000000091A8: D3F30054 1D529984
	buffer_load_dword v63, s[20:23], 0 offen lds               // 0000000091B0: E0511000 8005003F
	s_add_u32 m0, 0x200, s50                                   // 0000000091B8: 807C32FF 00000200
	v_mfma_f32_16x16x32_fp8_fp8 v[84:87], a[134:135], a[78:79], v[84:87]// 0000000091C0: D3F30054 1D529D86
	v_mfma_f32_16x16x32_fp8_fp8 v[88:91], a[128:129], a[80:81], v[88:91]// 0000000091C8: D3F30058 1D62A180
	buffer_load_dword v64, s[20:23], 0 offen lds               // 0000000091D0: E0511000 80050040
	s_add_u32 m0, 0x300, s50                                   // 0000000091D8: 807C32FF 00000300
	v_mfma_f32_16x16x32_fp8_fp8 v[88:91], a[130:131], a[82:83], v[88:91]// 0000000091E0: D3F30058 1D62A582
	v_mfma_f32_16x16x32_fp8_fp8 v[88:91], a[132:133], a[84:85], v[88:91]// 0000000091E8: D3F30058 1D62A984
	buffer_load_dword v65, s[20:23], 0 offen lds               // 0000000091F0: E0511000 80050041
	s_add_u32 m0, 0x400, s50                                   // 0000000091F8: 807C32FF 00000400
	v_mfma_f32_16x16x32_fp8_fp8 v[88:91], a[134:135], a[86:87], v[88:91]// 000000009200: D3F30058 1D62AD86
	v_mfma_f32_16x16x32_fp8_fp8 v[92:95], a[128:129], a[88:89], v[92:95]// 000000009208: D3F3005C 1D72B180
	buffer_load_dword v66, s[20:23], 0 offen lds               // 000000009210: E0511000 80050042
	s_add_u32 m0, 0x500, s50                                   // 000000009218: 807C32FF 00000500
	v_mfma_f32_16x16x32_fp8_fp8 v[92:95], a[130:131], a[90:91], v[92:95]// 000000009220: D3F3005C 1D72B582
	v_mfma_f32_16x16x32_fp8_fp8 v[92:95], a[132:133], a[92:93], v[92:95]// 000000009228: D3F3005C 1D72B984
	buffer_load_dword v67, s[20:23], 0 offen lds               // 000000009230: E0511000 80050043
	s_add_u32 m0, 0x600, s50                                   // 000000009238: 807C32FF 00000600
	v_mfma_f32_16x16x32_fp8_fp8 v[92:95], a[134:135], a[94:95], v[92:95]// 000000009240: D3F3005C 1D72BD86
	v_mfma_f32_16x16x32_fp8_fp8 v[96:99], a[128:129], a[96:97], v[96:99]// 000000009248: D3F30060 1D82C180
	v_mfma_f32_16x16x32_fp8_fp8 v[96:99], a[130:131], a[98:99], v[96:99]// 000000009250: D3F30060 1D82C582
	v_mfma_f32_16x16x32_fp8_fp8 v[96:99], a[132:133], a[100:101], v[96:99]// 000000009258: D3F30060 1D82C984
	v_mfma_f32_16x16x32_fp8_fp8 v[96:99], a[134:135], a[102:103], v[96:99]// 000000009260: D3F30060 1D82CD86
	v_mfma_f32_16x16x32_fp8_fp8 v[100:103], a[128:129], a[104:105], v[100:103]// 000000009268: D3F30064 1D92D180
	buffer_load_dword v68, s[20:23], 0 offen lds               // 000000009270: E0511000 80050044
	s_add_u32 m0, 0x700, s50                                   // 000000009278: 807C32FF 00000700
	v_mfma_f32_16x16x32_fp8_fp8 v[100:103], a[130:131], a[106:107], v[100:103]// 000000009280: D3F30064 1D92D582
	v_mfma_f32_16x16x32_fp8_fp8 v[100:103], a[132:133], a[108:109], v[100:103]// 000000009288: D3F30064 1D92D984
	buffer_load_dword v69, s[20:23], 0 offen lds               // 000000009290: E0511000 80050045
	s_add_u32 m0, 0x800, s50                                   // 000000009298: 807C32FF 00000800
	v_mfma_f32_16x16x32_fp8_fp8 v[100:103], a[134:135], a[110:111], v[100:103]// 0000000092A0: D3F30064 1D92DD86
	v_mfma_f32_16x16x32_fp8_fp8 v[104:107], a[128:129], a[112:113], v[104:107]// 0000000092A8: D3F30068 1DA2E180
	v_mfma_f32_16x16x32_fp8_fp8 v[104:107], a[130:131], a[114:115], v[104:107]// 0000000092B0: D3F30068 1DA2E582
	v_mfma_f32_16x16x32_fp8_fp8 v[104:107], a[132:133], a[116:117], v[104:107]// 0000000092B8: D3F30068 1DA2E984
	v_mfma_f32_16x16x32_fp8_fp8 v[104:107], a[134:135], a[118:119], v[104:107]// 0000000092C0: D3F30068 1DA2ED86
	v_mfma_f32_16x16x32_fp8_fp8 v[108:111], a[128:129], a[120:121], v[108:111]// 0000000092C8: D3F3006C 1DB2F180
	buffer_load_dword v70, s[20:23], 0 offen lds               // 0000000092D0: E0511000 80050046
	s_add_u32 m0, 0x900, s50                                   // 0000000092D8: 807C32FF 00000900
	v_mfma_f32_16x16x32_fp8_fp8 v[108:111], a[130:131], a[122:123], v[108:111]// 0000000092E0: D3F3006C 1DB2F582
	v_mfma_f32_16x16x32_fp8_fp8 v[108:111], a[132:133], a[124:125], v[108:111]// 0000000092E8: D3F3006C 1DB2F984
	buffer_load_dword v71, s[20:23], 0 offen lds               // 0000000092F0: E0511000 80050047
	s_add_u32 m0, 0xa00, s50                                   // 0000000092F8: 807C32FF 00000A00
	v_mfma_f32_16x16x32_fp8_fp8 v[108:111], a[134:135], a[126:127], v[108:111]// 000000009300: D3F3006C 1DB2FD86
	buffer_load_dword v72, s[20:23], 0 offen lds               // 000000009308: E0511000 80050048
	s_add_u32 m0, 0xb00, s50                                   // 000000009310: 807C32FF 00000B00
	buffer_load_dword v73, s[20:23], 0 offen lds               // 000000009318: E0511000 80050049
	s_add_u32 m0, 0xc00, s50                                   // 000000009320: 807C32FF 00000C00
	buffer_load_dword v74, s[20:23], 0 offen lds               // 000000009328: E0511000 8005004A
	s_add_u32 m0, 0xd00, s50                                   // 000000009330: 807C32FF 00000D00
	buffer_load_dword v75, s[20:23], 0 offen lds               // 000000009338: E0511000 8005004B
	s_add_u32 m0, 0xe00, s50                                   // 000000009340: 807C32FF 00000E00
	buffer_load_dword v76, s[20:23], 0 offen lds               // 000000009348: E0511000 8005004C
	s_add_u32 m0, 0xf00, s50                                   // 000000009350: 807C32FF 00000F00
	buffer_load_dword v77, s[20:23], 0 offen lds               // 000000009358: E0511000 8005004D
	s_add_u32 m0, 0, s48                                       // 000000009360: 807C3080
	s_waitcnt vmcnt(18)                                        // 000000009364: BF8C4F72
	s_barrier                                                  // 000000009368: BF8A0000
	v_mfma_f32_16x16x32_fp8_fp8 v[112:115], a[136:137], a[64:65], v[112:115]// 00000000936C: D3F30070 1DC28188
	buffer_load_dwordx4 a[128:131], v78, s[84:87], 0 offen     // 000000009374: E05C1000 8095804E
	v_mfma_f32_16x16x32_fp8_fp8 v[112:115], a[138:139], a[66:67], v[112:115]// 00000000937C: D3F30070 1DC2858A
	v_mfma_f32_16x16x32_fp8_fp8 v[112:115], a[140:141], a[68:69], v[112:115]// 000000009384: D3F30070 1DC2898C
	ds_read_b128 a[0:3], v2 offset:16512                       // 00000000938C: DBFE4080 00000002
	ds_read_b128 a[4:7], v2 offset:16576                       // 000000009394: DBFE40C0 04000002
	v_mfma_f32_16x16x32_fp8_fp8 v[112:115], a[142:143], a[70:71], v[112:115]// 00000000939C: D3F30070 1DC28D8E
	v_mfma_f32_16x16x32_fp8_fp8 v[116:119], a[136:137], a[72:73], v[116:119]// 0000000093A4: D3F30074 1DD29188
	buffer_load_dwordx4 a[132:135], v78, s[84:87], 0 offen offset:1024// 0000000093AC: E05C1400 8095844E
	v_mfma_f32_16x16x32_fp8_fp8 v[116:119], a[138:139], a[74:75], v[116:119]// 0000000093B4: D3F30074 1DD2958A
	v_mfma_f32_16x16x32_fp8_fp8 v[116:119], a[140:141], a[76:77], v[116:119]// 0000000093BC: D3F30074 1DD2998C
	ds_read_b128 a[8:11], v2 offset:17024                      // 0000000093C4: DBFE4280 08000002
	ds_read_b128 a[12:15], v2 offset:17088                     // 0000000093CC: DBFE42C0 0C000002
	v_mfma_f32_16x16x32_fp8_fp8 v[116:119], a[142:143], a[78:79], v[116:119]// 0000000093D4: D3F30074 1DD29D8E
	v_mfma_f32_16x16x32_fp8_fp8 v[120:123], a[136:137], a[80:81], v[120:123]// 0000000093DC: D3F30078 1DE2A188
	v_mfma_f32_16x16x32_fp8_fp8 v[120:123], a[138:139], a[82:83], v[120:123]// 0000000093E4: D3F30078 1DE2A58A
	v_mfma_f32_16x16x32_fp8_fp8 v[120:123], a[140:141], a[84:85], v[120:123]// 0000000093EC: D3F30078 1DE2A98C
	ds_read_b128 a[16:19], v2 offset:17536                     // 0000000093F4: DBFE4480 10000002
	ds_read_b128 a[20:23], v2 offset:17600                     // 0000000093FC: DBFE44C0 14000002
	v_mfma_f32_16x16x32_fp8_fp8 v[120:123], a[142:143], a[86:87], v[120:123]// 000000009404: D3F30078 1DE2AD8E
	v_mfma_f32_16x16x32_fp8_fp8 v[124:127], a[136:137], a[88:89], v[124:127]// 00000000940C: D3F3007C 1DF2B188
	v_mfma_f32_16x16x32_fp8_fp8 v[124:127], a[138:139], a[90:91], v[124:127]// 000000009414: D3F3007C 1DF2B58A
	v_mfma_f32_16x16x32_fp8_fp8 v[124:127], a[140:141], a[92:93], v[124:127]// 00000000941C: D3F3007C 1DF2B98C
	ds_read_b128 a[24:27], v2 offset:18048                     // 000000009424: DBFE4680 18000002
	ds_read_b128 a[28:31], v2 offset:18112                     // 00000000942C: DBFE46C0 1C000002
	v_mfma_f32_16x16x32_fp8_fp8 v[124:127], a[142:143], a[94:95], v[124:127]// 000000009434: D3F3007C 1DF2BD8E
	v_mfma_f32_16x16x32_fp8_fp8 v[128:131], a[136:137], a[96:97], v[128:131]// 00000000943C: D3F30080 1E02C188
	v_mfma_f32_16x16x32_fp8_fp8 v[128:131], a[138:139], a[98:99], v[128:131]// 000000009444: D3F30080 1E02C58A
	v_mfma_f32_16x16x32_fp8_fp8 v[128:131], a[140:141], a[100:101], v[128:131]// 00000000944C: D3F30080 1E02C98C
	ds_read_b128 a[32:35], v2 offset:18560                     // 000000009454: DBFE4880 20000002
	ds_read_b128 a[36:39], v2 offset:18624                     // 00000000945C: DBFE48C0 24000002
	v_mfma_f32_16x16x32_fp8_fp8 v[128:131], a[142:143], a[102:103], v[128:131]// 000000009464: D3F30080 1E02CD8E
	v_mfma_f32_16x16x32_fp8_fp8 v[132:135], a[136:137], a[104:105], v[132:135]// 00000000946C: D3F30084 1E12D188
	v_mfma_f32_16x16x32_fp8_fp8 v[132:135], a[138:139], a[106:107], v[132:135]// 000000009474: D3F30084 1E12D58A
	v_mfma_f32_16x16x32_fp8_fp8 v[132:135], a[140:141], a[108:109], v[132:135]// 00000000947C: D3F30084 1E12D98C
	ds_read_b128 a[40:43], v2 offset:19072                     // 000000009484: DBFE4A80 28000002
	ds_read_b128 a[44:47], v2 offset:19136                     // 00000000948C: DBFE4AC0 2C000002
	v_mfma_f32_16x16x32_fp8_fp8 v[132:135], a[142:143], a[110:111], v[132:135]// 000000009494: D3F30084 1E12DD8E
	v_mfma_f32_16x16x32_fp8_fp8 v[136:139], a[136:137], a[112:113], v[136:139]// 00000000949C: D3F30088 1E22E188
	s_add_u32 s60, 0x180, s80                                  // 0000000094A4: 803C50FF 00000180
	s_cmp_lt_u32 s60, s81                                      // 0000000094AC: BF0A513C
	s_cselect_b32 s57, s57, 0                                  // 0000000094B0: 85398039
	v_mfma_f32_16x16x32_fp8_fp8 v[136:139], a[138:139], a[114:115], v[136:139]// 0000000094B4: D3F30088 1E22E58A
	s_add_u32 s60, 0x100, s80                                  // 0000000094BC: 803C50FF 00000100
	s_cmp_lt_u32 s60, s81                                      // 0000000094C4: BF0A513C
	s_cselect_b32 s58, s58, 0                                  // 0000000094C8: 853A803A
	v_mfma_f32_16x16x32_fp8_fp8 v[136:139], a[140:141], a[116:117], v[136:139]// 0000000094CC: D3F30088 1E22E98C
	ds_read_b128 a[48:51], v2 offset:19584                     // 0000000094D4: DBFE4C80 30000002
	ds_read_b128 a[52:55], v2 offset:19648                     // 0000000094DC: DBFE4CC0 34000002
	s_add_u32 s60, 0x100, s80                                  // 0000000094E4: 803C50FF 00000100
	s_cmp_lt_u32 s60, s81                                      // 0000000094EC: BF0A513C
	s_cselect_b32 s83, s83, 0                                  // 0000000094F0: 85538053
	v_mfma_f32_16x16x32_fp8_fp8 v[136:139], a[142:143], a[118:119], v[136:139]// 0000000094F4: D3F30088 1E22ED8E
	s_add_u32 s24, s58, s24                                    // 0000000094FC: 8018183A
	s_addc_u32 s25, 0, s25                                     // 000000009500: 82191980
	v_mfma_f32_16x16x32_fp8_fp8 v[140:143], a[136:137], a[120:121], v[140:143]// 000000009504: D3F3008C 1E32F188
	s_add_u32 s20, s57, s20                                    // 00000000950C: 80141439
	s_addc_u32 s21, 0, s21                                     // 000000009510: 82151580
	v_mfma_f32_16x16x32_fp8_fp8 v[140:143], a[138:139], a[122:123], v[140:143]// 000000009514: D3F3008C 1E32F58A
	s_add_u32 s84, s83, s84                                    // 00000000951C: 80545453
	s_addc_u32 s85, 0, s85                                     // 000000009520: 82555580
	v_mfma_f32_16x16x32_fp8_fp8 v[140:143], a[140:141], a[124:125], v[140:143]// 000000009524: D3F3008C 1E32F98C
	ds_read_b128 a[56:59], v2 offset:20096                     // 00000000952C: DBFE4E80 38000002
	ds_read_b128 a[60:63], v2 offset:20160                     // 000000009534: DBFE4EC0 3C000002
	v_mfma_f32_16x16x32_fp8_fp8 v[140:143], a[142:143], a[126:127], v[140:143]// 00000000953C: D3F3008C 1E32FD8E
	s_addk_i32 s80, 0x80                                       // 000000009544: B7500080
	s_cmp_lt_i32 s80, s81                                      // 000000009548: BF045150
	s_cbranch_scc0 label_1CD6                                  // 00000000954C: BF8401FF
	s_waitcnt vmcnt(18) lgkmcnt(0)                             // 000000009550: BF8C4072
	v_mfma_f32_16x16x32_fp8_fp8 v[80:83], a[144:145], a[0:1], v[80:83]// 000000009554: D3F30050 1D420190
	buffer_load_dwordx4 a[136:139], v78, s[24:27], 0 offen     // 00000000955C: E05C1000 8086884E
	v_mfma_f32_16x16x32_fp8_fp8 v[80:83], a[146:147], a[2:3], v[80:83]// 000000009564: D3F30050 1D420592
	v_mfma_f32_16x16x32_fp8_fp8 v[80:83], a[148:149], a[4:5], v[80:83]// 00000000956C: D3F30050 1D420994
	v_mfma_f32_16x16x32_fp8_fp8 v[80:83], a[150:151], a[6:7], v[80:83]// 000000009574: D3F30050 1D420D96
	v_mfma_f32_16x16x32_fp8_fp8 v[84:87], a[144:145], a[8:9], v[84:87]// 00000000957C: D3F30054 1D521190
	buffer_load_dwordx4 a[140:143], v78, s[24:27], 0 offen offset:1024// 000000009584: E05C1400 80868C4E
	buffer_load_dword v62, s[20:23], 0 offen lds               // 00000000958C: E0511000 8005003E
	s_add_u32 m0, 0x100, s48                                   // 000000009594: 807C30FF 00000100
	v_mfma_f32_16x16x32_fp8_fp8 v[84:87], a[146:147], a[10:11], v[84:87]// 00000000959C: D3F30054 1D521592
	v_mfma_f32_16x16x32_fp8_fp8 v[84:87], a[148:149], a[12:13], v[84:87]// 0000000095A4: D3F30054 1D521994
	buffer_load_dword v63, s[20:23], 0 offen lds               // 0000000095AC: E0511000 8005003F
	s_add_u32 m0, 0x200, s48                                   // 0000000095B4: 807C30FF 00000200
	v_mfma_f32_16x16x32_fp8_fp8 v[84:87], a[150:151], a[14:15], v[84:87]// 0000000095BC: D3F30054 1D521D96
	v_mfma_f32_16x16x32_fp8_fp8 v[88:91], a[144:145], a[16:17], v[88:91]// 0000000095C4: D3F30058 1D622190
	buffer_load_dword v64, s[20:23], 0 offen lds               // 0000000095CC: E0511000 80050040
	s_add_u32 m0, 0x300, s48                                   // 0000000095D4: 807C30FF 00000300
	v_mfma_f32_16x16x32_fp8_fp8 v[88:91], a[146:147], a[18:19], v[88:91]// 0000000095DC: D3F30058 1D622592
	v_mfma_f32_16x16x32_fp8_fp8 v[88:91], a[148:149], a[20:21], v[88:91]// 0000000095E4: D3F30058 1D622994
	buffer_load_dword v65, s[20:23], 0 offen lds               // 0000000095EC: E0511000 80050041
	s_add_u32 m0, 0x400, s48                                   // 0000000095F4: 807C30FF 00000400
	v_mfma_f32_16x16x32_fp8_fp8 v[88:91], a[150:151], a[22:23], v[88:91]// 0000000095FC: D3F30058 1D622D96
	v_mfma_f32_16x16x32_fp8_fp8 v[92:95], a[144:145], a[24:25], v[92:95]// 000000009604: D3F3005C 1D723190
	buffer_load_dword v66, s[20:23], 0 offen lds               // 00000000960C: E0511000 80050042
	s_add_u32 m0, 0x500, s48                                   // 000000009614: 807C30FF 00000500
	v_mfma_f32_16x16x32_fp8_fp8 v[92:95], a[146:147], a[26:27], v[92:95]// 00000000961C: D3F3005C 1D723592
	v_mfma_f32_16x16x32_fp8_fp8 v[92:95], a[148:149], a[28:29], v[92:95]// 000000009624: D3F3005C 1D723994
	buffer_load_dword v67, s[20:23], 0 offen lds               // 00000000962C: E0511000 80050043
	s_add_u32 m0, 0x600, s48                                   // 000000009634: 807C30FF 00000600
	v_mfma_f32_16x16x32_fp8_fp8 v[92:95], a[150:151], a[30:31], v[92:95]// 00000000963C: D3F3005C 1D723D96
	v_mfma_f32_16x16x32_fp8_fp8 v[96:99], a[144:145], a[32:33], v[96:99]// 000000009644: D3F30060 1D824190
	v_mfma_f32_16x16x32_fp8_fp8 v[96:99], a[146:147], a[34:35], v[96:99]// 00000000964C: D3F30060 1D824592
	v_mfma_f32_16x16x32_fp8_fp8 v[96:99], a[148:149], a[36:37], v[96:99]// 000000009654: D3F30060 1D824994
	v_mfma_f32_16x16x32_fp8_fp8 v[96:99], a[150:151], a[38:39], v[96:99]// 00000000965C: D3F30060 1D824D96
	v_mfma_f32_16x16x32_fp8_fp8 v[100:103], a[144:145], a[40:41], v[100:103]// 000000009664: D3F30064 1D925190
	buffer_load_dword v68, s[20:23], 0 offen lds               // 00000000966C: E0511000 80050044
	s_add_u32 m0, 0x700, s48                                   // 000000009674: 807C30FF 00000700
	v_mfma_f32_16x16x32_fp8_fp8 v[100:103], a[146:147], a[42:43], v[100:103]// 00000000967C: D3F30064 1D925592
	v_mfma_f32_16x16x32_fp8_fp8 v[100:103], a[148:149], a[44:45], v[100:103]// 000000009684: D3F30064 1D925994
	buffer_load_dword v69, s[20:23], 0 offen lds               // 00000000968C: E0511000 80050045
	s_add_u32 m0, 0x800, s48                                   // 000000009694: 807C30FF 00000800
	v_mfma_f32_16x16x32_fp8_fp8 v[100:103], a[150:151], a[46:47], v[100:103]// 00000000969C: D3F30064 1D925D96
	v_mfma_f32_16x16x32_fp8_fp8 v[104:107], a[144:145], a[48:49], v[104:107]// 0000000096A4: D3F30068 1DA26190
	v_mfma_f32_16x16x32_fp8_fp8 v[104:107], a[146:147], a[50:51], v[104:107]// 0000000096AC: D3F30068 1DA26592
	v_mfma_f32_16x16x32_fp8_fp8 v[104:107], a[148:149], a[52:53], v[104:107]// 0000000096B4: D3F30068 1DA26994
	v_mfma_f32_16x16x32_fp8_fp8 v[104:107], a[150:151], a[54:55], v[104:107]// 0000000096BC: D3F30068 1DA26D96
	v_mfma_f32_16x16x32_fp8_fp8 v[108:111], a[144:145], a[56:57], v[108:111]// 0000000096C4: D3F3006C 1DB27190
	buffer_load_dword v70, s[20:23], 0 offen lds               // 0000000096CC: E0511000 80050046
	s_add_u32 m0, 0x900, s48                                   // 0000000096D4: 807C30FF 00000900
	v_mfma_f32_16x16x32_fp8_fp8 v[108:111], a[146:147], a[58:59], v[108:111]// 0000000096DC: D3F3006C 1DB27592
	v_mfma_f32_16x16x32_fp8_fp8 v[108:111], a[148:149], a[60:61], v[108:111]// 0000000096E4: D3F3006C 1DB27994
	buffer_load_dword v71, s[20:23], 0 offen lds               // 0000000096EC: E0511000 80050047
	s_add_u32 m0, 0xa00, s48                                   // 0000000096F4: 807C30FF 00000A00
	v_mfma_f32_16x16x32_fp8_fp8 v[108:111], a[150:151], a[62:63], v[108:111]// 0000000096FC: D3F3006C 1DB27D96
	buffer_load_dword v72, s[20:23], 0 offen lds               // 000000009704: E0511000 80050048
	s_add_u32 m0, 0xb00, s48                                   // 00000000970C: 807C30FF 00000B00
	buffer_load_dword v73, s[20:23], 0 offen lds               // 000000009714: E0511000 80050049
	s_add_u32 m0, 0xc00, s48                                   // 00000000971C: 807C30FF 00000C00
	buffer_load_dword v74, s[20:23], 0 offen lds               // 000000009724: E0511000 8005004A
	s_add_u32 m0, 0xd00, s48                                   // 00000000972C: 807C30FF 00000D00
	buffer_load_dword v75, s[20:23], 0 offen lds               // 000000009734: E0511000 8005004B
	s_add_u32 m0, 0xe00, s48                                   // 00000000973C: 807C30FF 00000E00
	buffer_load_dword v76, s[20:23], 0 offen lds               // 000000009744: E0511000 8005004C
	s_add_u32 m0, 0xf00, s48                                   // 00000000974C: 807C30FF 00000F00
	buffer_load_dword v77, s[20:23], 0 offen lds               // 000000009754: E0511000 8005004D
	s_add_u32 m0, 0, s49                                       // 00000000975C: 807C3180
	s_waitcnt vmcnt(18)                                        // 000000009760: BF8C4F72
	s_barrier                                                  // 000000009764: BF8A0000
	v_mfma_f32_16x16x32_fp8_fp8 v[112:115], a[128:129], a[0:1], v[112:115]// 000000009768: D3F30070 1DC20180
	buffer_load_dwordx4 a[144:147], v78, s[84:87], 0 offen     // 000000009770: E05C1000 8095904E
	v_mfma_f32_16x16x32_fp8_fp8 v[112:115], a[130:131], a[2:3], v[112:115]// 000000009778: D3F30070 1DC20582
	v_mfma_f32_16x16x32_fp8_fp8 v[112:115], a[132:133], a[4:5], v[112:115]// 000000009780: D3F30070 1DC20984
	ds_read_b128 a[64:67], v2 offset:33024                     // 000000009788: DBFE8100 40000002
	ds_read_b128 a[68:71], v2 offset:33088                     // 000000009790: DBFE8140 44000002
	v_mfma_f32_16x16x32_fp8_fp8 v[112:115], a[134:135], a[6:7], v[112:115]// 000000009798: D3F30070 1DC20D86
	v_mfma_f32_16x16x32_fp8_fp8 v[116:119], a[128:129], a[8:9], v[116:119]// 0000000097A0: D3F30074 1DD21180
	buffer_load_dwordx4 a[148:151], v78, s[84:87], 0 offen offset:1024// 0000000097A8: E05C1400 8095944E
	v_mfma_f32_16x16x32_fp8_fp8 v[116:119], a[130:131], a[10:11], v[116:119]// 0000000097B0: D3F30074 1DD21582
	v_mfma_f32_16x16x32_fp8_fp8 v[116:119], a[132:133], a[12:13], v[116:119]// 0000000097B8: D3F30074 1DD21984
	ds_read_b128 a[72:75], v2 offset:33536                     // 0000000097C0: DBFE8300 48000002
	ds_read_b128 a[76:79], v2 offset:33600                     // 0000000097C8: DBFE8340 4C000002
	v_mfma_f32_16x16x32_fp8_fp8 v[116:119], a[134:135], a[14:15], v[116:119]// 0000000097D0: D3F30074 1DD21D86
	v_mfma_f32_16x16x32_fp8_fp8 v[120:123], a[128:129], a[16:17], v[120:123]// 0000000097D8: D3F30078 1DE22180
	v_mfma_f32_16x16x32_fp8_fp8 v[120:123], a[130:131], a[18:19], v[120:123]// 0000000097E0: D3F30078 1DE22582
	v_mfma_f32_16x16x32_fp8_fp8 v[120:123], a[132:133], a[20:21], v[120:123]// 0000000097E8: D3F30078 1DE22984
	ds_read_b128 a[80:83], v2 offset:34048                     // 0000000097F0: DBFE8500 50000002
	ds_read_b128 a[84:87], v2 offset:34112                     // 0000000097F8: DBFE8540 54000002
	v_mfma_f32_16x16x32_fp8_fp8 v[120:123], a[134:135], a[22:23], v[120:123]// 000000009800: D3F30078 1DE22D86
	v_mfma_f32_16x16x32_fp8_fp8 v[124:127], a[128:129], a[24:25], v[124:127]// 000000009808: D3F3007C 1DF23180
	v_mfma_f32_16x16x32_fp8_fp8 v[124:127], a[130:131], a[26:27], v[124:127]// 000000009810: D3F3007C 1DF23582
	v_mfma_f32_16x16x32_fp8_fp8 v[124:127], a[132:133], a[28:29], v[124:127]// 000000009818: D3F3007C 1DF23984
	ds_read_b128 a[88:91], v2 offset:34560                     // 000000009820: DBFE8700 58000002
	ds_read_b128 a[92:95], v2 offset:34624                     // 000000009828: DBFE8740 5C000002
	v_mfma_f32_16x16x32_fp8_fp8 v[124:127], a[134:135], a[30:31], v[124:127]// 000000009830: D3F3007C 1DF23D86
	v_mfma_f32_16x16x32_fp8_fp8 v[128:131], a[128:129], a[32:33], v[128:131]// 000000009838: D3F30080 1E024180
	v_mfma_f32_16x16x32_fp8_fp8 v[128:131], a[130:131], a[34:35], v[128:131]// 000000009840: D3F30080 1E024582
	v_mfma_f32_16x16x32_fp8_fp8 v[128:131], a[132:133], a[36:37], v[128:131]// 000000009848: D3F30080 1E024984
	ds_read_b128 a[96:99], v2 offset:35072                     // 000000009850: DBFE8900 60000002
	ds_read_b128 a[100:103], v2 offset:35136                   // 000000009858: DBFE8940 64000002
	v_mfma_f32_16x16x32_fp8_fp8 v[128:131], a[134:135], a[38:39], v[128:131]// 000000009860: D3F30080 1E024D86
	v_mfma_f32_16x16x32_fp8_fp8 v[132:135], a[128:129], a[40:41], v[132:135]// 000000009868: D3F30084 1E125180
	v_mfma_f32_16x16x32_fp8_fp8 v[132:135], a[130:131], a[42:43], v[132:135]// 000000009870: D3F30084 1E125582
	v_mfma_f32_16x16x32_fp8_fp8 v[132:135], a[132:133], a[44:45], v[132:135]// 000000009878: D3F30084 1E125984
	ds_read_b128 a[104:107], v2 offset:35584                   // 000000009880: DBFE8B00 68000002
	ds_read_b128 a[108:111], v2 offset:35648                   // 000000009888: DBFE8B40 6C000002
	v_mfma_f32_16x16x32_fp8_fp8 v[132:135], a[134:135], a[46:47], v[132:135]// 000000009890: D3F30084 1E125D86
	v_mfma_f32_16x16x32_fp8_fp8 v[136:139], a[128:129], a[48:49], v[136:139]// 000000009898: D3F30088 1E226180
	s_add_u32 s60, 0x180, s80                                  // 0000000098A0: 803C50FF 00000180
	s_cmp_lt_u32 s60, s81                                      // 0000000098A8: BF0A513C
	s_cselect_b32 s57, s57, 0                                  // 0000000098AC: 85398039
	v_mfma_f32_16x16x32_fp8_fp8 v[136:139], a[130:131], a[50:51], v[136:139]// 0000000098B0: D3F30088 1E226582
	s_add_u32 s60, 0x100, s80                                  // 0000000098B8: 803C50FF 00000100
	s_cmp_lt_u32 s60, s81                                      // 0000000098C0: BF0A513C
	s_cselect_b32 s58, s58, 0                                  // 0000000098C4: 853A803A
	v_mfma_f32_16x16x32_fp8_fp8 v[136:139], a[132:133], a[52:53], v[136:139]// 0000000098C8: D3F30088 1E226984
	ds_read_b128 a[112:115], v2 offset:36096                   // 0000000098D0: DBFE8D00 70000002
	ds_read_b128 a[116:119], v2 offset:36160                   // 0000000098D8: DBFE8D40 74000002
	s_add_u32 s60, 0x100, s80                                  // 0000000098E0: 803C50FF 00000100
	s_cmp_lt_u32 s60, s81                                      // 0000000098E8: BF0A513C
	s_cselect_b32 s83, s83, 0                                  // 0000000098EC: 85538053
	v_mfma_f32_16x16x32_fp8_fp8 v[136:139], a[134:135], a[54:55], v[136:139]// 0000000098F0: D3F30088 1E226D86
	s_add_u32 s24, s58, s24                                    // 0000000098F8: 8018183A
	s_addc_u32 s25, 0, s25                                     // 0000000098FC: 82191980
	v_mfma_f32_16x16x32_fp8_fp8 v[140:143], a[128:129], a[56:57], v[140:143]// 000000009900: D3F3008C 1E327180
	s_add_u32 s20, s57, s20                                    // 000000009908: 80141439
	s_addc_u32 s21, 0, s21                                     // 00000000990C: 82151580
	v_mfma_f32_16x16x32_fp8_fp8 v[140:143], a[130:131], a[58:59], v[140:143]// 000000009910: D3F3008C 1E327582
	s_add_u32 s84, s83, s84                                    // 000000009918: 80545453
	s_addc_u32 s85, 0, s85                                     // 00000000991C: 82555580
	v_mfma_f32_16x16x32_fp8_fp8 v[140:143], a[132:133], a[60:61], v[140:143]// 000000009920: D3F3008C 1E327984
	ds_read_b128 a[120:123], v2 offset:36608                   // 000000009928: DBFE8F00 78000002
	ds_read_b128 a[124:127], v2 offset:36672                   // 000000009930: DBFE8F40 7C000002
	v_mfma_f32_16x16x32_fp8_fp8 v[140:143], a[134:135], a[62:63], v[140:143]// 000000009938: D3F3008C 1E327D86
	s_addk_i32 s80, 0x80                                       // 000000009940: B7500080
	s_cmp_lt_i32 s80, s81                                      // 000000009944: BF045150
	s_cbranch_scc0 label_1CD6                                  // 000000009948: BF840100
	s_waitcnt vmcnt(18) lgkmcnt(0)                             // 00000000994C: BF8C4072
	v_mfma_f32_16x16x32_fp8_fp8 v[80:83], a[136:137], a[64:65], v[80:83]// 000000009950: D3F30050 1D428188
	buffer_load_dwordx4 a[128:131], v78, s[24:27], 0 offen     // 000000009958: E05C1000 8086804E
	v_mfma_f32_16x16x32_fp8_fp8 v[80:83], a[138:139], a[66:67], v[80:83]// 000000009960: D3F30050 1D42858A
	v_mfma_f32_16x16x32_fp8_fp8 v[80:83], a[140:141], a[68:69], v[80:83]// 000000009968: D3F30050 1D42898C
	v_mfma_f32_16x16x32_fp8_fp8 v[80:83], a[142:143], a[70:71], v[80:83]// 000000009970: D3F30050 1D428D8E
	v_mfma_f32_16x16x32_fp8_fp8 v[84:87], a[136:137], a[72:73], v[84:87]// 000000009978: D3F30054 1D529188
	buffer_load_dwordx4 a[132:135], v78, s[24:27], 0 offen offset:1024// 000000009980: E05C1400 8086844E
	buffer_load_dword v62, s[20:23], 0 offen lds               // 000000009988: E0511000 8005003E
	s_add_u32 m0, 0x100, s49                                   // 000000009990: 807C31FF 00000100
	v_mfma_f32_16x16x32_fp8_fp8 v[84:87], a[138:139], a[74:75], v[84:87]// 000000009998: D3F30054 1D52958A
	v_mfma_f32_16x16x32_fp8_fp8 v[84:87], a[140:141], a[76:77], v[84:87]// 0000000099A0: D3F30054 1D52998C
	buffer_load_dword v63, s[20:23], 0 offen lds               // 0000000099A8: E0511000 8005003F
	s_add_u32 m0, 0x200, s49                                   // 0000000099B0: 807C31FF 00000200
	v_mfma_f32_16x16x32_fp8_fp8 v[84:87], a[142:143], a[78:79], v[84:87]// 0000000099B8: D3F30054 1D529D8E
	v_mfma_f32_16x16x32_fp8_fp8 v[88:91], a[136:137], a[80:81], v[88:91]// 0000000099C0: D3F30058 1D62A188
	buffer_load_dword v64, s[20:23], 0 offen lds               // 0000000099C8: E0511000 80050040
	s_add_u32 m0, 0x300, s49                                   // 0000000099D0: 807C31FF 00000300
	v_mfma_f32_16x16x32_fp8_fp8 v[88:91], a[138:139], a[82:83], v[88:91]// 0000000099D8: D3F30058 1D62A58A
	v_mfma_f32_16x16x32_fp8_fp8 v[88:91], a[140:141], a[84:85], v[88:91]// 0000000099E0: D3F30058 1D62A98C
	buffer_load_dword v65, s[20:23], 0 offen lds               // 0000000099E8: E0511000 80050041
	s_add_u32 m0, 0x400, s49                                   // 0000000099F0: 807C31FF 00000400
	v_mfma_f32_16x16x32_fp8_fp8 v[88:91], a[142:143], a[86:87], v[88:91]// 0000000099F8: D3F30058 1D62AD8E
	v_mfma_f32_16x16x32_fp8_fp8 v[92:95], a[136:137], a[88:89], v[92:95]// 000000009A00: D3F3005C 1D72B188
	buffer_load_dword v66, s[20:23], 0 offen lds               // 000000009A08: E0511000 80050042
	s_add_u32 m0, 0x500, s49                                   // 000000009A10: 807C31FF 00000500
	v_mfma_f32_16x16x32_fp8_fp8 v[92:95], a[138:139], a[90:91], v[92:95]// 000000009A18: D3F3005C 1D72B58A
	v_mfma_f32_16x16x32_fp8_fp8 v[92:95], a[140:141], a[92:93], v[92:95]// 000000009A20: D3F3005C 1D72B98C
	buffer_load_dword v67, s[20:23], 0 offen lds               // 000000009A28: E0511000 80050043
	s_add_u32 m0, 0x600, s49                                   // 000000009A30: 807C31FF 00000600
	v_mfma_f32_16x16x32_fp8_fp8 v[92:95], a[142:143], a[94:95], v[92:95]// 000000009A38: D3F3005C 1D72BD8E
	v_mfma_f32_16x16x32_fp8_fp8 v[96:99], a[136:137], a[96:97], v[96:99]// 000000009A40: D3F30060 1D82C188
	v_mfma_f32_16x16x32_fp8_fp8 v[96:99], a[138:139], a[98:99], v[96:99]// 000000009A48: D3F30060 1D82C58A
	v_mfma_f32_16x16x32_fp8_fp8 v[96:99], a[140:141], a[100:101], v[96:99]// 000000009A50: D3F30060 1D82C98C
	v_mfma_f32_16x16x32_fp8_fp8 v[96:99], a[142:143], a[102:103], v[96:99]// 000000009A58: D3F30060 1D82CD8E
	v_mfma_f32_16x16x32_fp8_fp8 v[100:103], a[136:137], a[104:105], v[100:103]// 000000009A60: D3F30064 1D92D188
	buffer_load_dword v68, s[20:23], 0 offen lds               // 000000009A68: E0511000 80050044
	s_add_u32 m0, 0x700, s49                                   // 000000009A70: 807C31FF 00000700
	v_mfma_f32_16x16x32_fp8_fp8 v[100:103], a[138:139], a[106:107], v[100:103]// 000000009A78: D3F30064 1D92D58A
	v_mfma_f32_16x16x32_fp8_fp8 v[100:103], a[140:141], a[108:109], v[100:103]// 000000009A80: D3F30064 1D92D98C
	buffer_load_dword v69, s[20:23], 0 offen lds               // 000000009A88: E0511000 80050045
	s_add_u32 m0, 0x800, s49                                   // 000000009A90: 807C31FF 00000800
	v_mfma_f32_16x16x32_fp8_fp8 v[100:103], a[142:143], a[110:111], v[100:103]// 000000009A98: D3F30064 1D92DD8E
	v_mfma_f32_16x16x32_fp8_fp8 v[104:107], a[136:137], a[112:113], v[104:107]// 000000009AA0: D3F30068 1DA2E188
	v_mfma_f32_16x16x32_fp8_fp8 v[104:107], a[138:139], a[114:115], v[104:107]// 000000009AA8: D3F30068 1DA2E58A
	v_mfma_f32_16x16x32_fp8_fp8 v[104:107], a[140:141], a[116:117], v[104:107]// 000000009AB0: D3F30068 1DA2E98C
	v_mfma_f32_16x16x32_fp8_fp8 v[104:107], a[142:143], a[118:119], v[104:107]// 000000009AB8: D3F30068 1DA2ED8E
	v_mfma_f32_16x16x32_fp8_fp8 v[108:111], a[136:137], a[120:121], v[108:111]// 000000009AC0: D3F3006C 1DB2F188
	buffer_load_dword v70, s[20:23], 0 offen lds               // 000000009AC8: E0511000 80050046
	s_add_u32 m0, 0x900, s49                                   // 000000009AD0: 807C31FF 00000900
	v_mfma_f32_16x16x32_fp8_fp8 v[108:111], a[138:139], a[122:123], v[108:111]// 000000009AD8: D3F3006C 1DB2F58A
	v_mfma_f32_16x16x32_fp8_fp8 v[108:111], a[140:141], a[124:125], v[108:111]// 000000009AE0: D3F3006C 1DB2F98C
	buffer_load_dword v71, s[20:23], 0 offen lds               // 000000009AE8: E0511000 80050047
	s_add_u32 m0, 0xa00, s49                                   // 000000009AF0: 807C31FF 00000A00
	v_mfma_f32_16x16x32_fp8_fp8 v[108:111], a[142:143], a[126:127], v[108:111]// 000000009AF8: D3F3006C 1DB2FD8E
	buffer_load_dword v72, s[20:23], 0 offen lds               // 000000009B00: E0511000 80050048
	s_add_u32 m0, 0xb00, s49                                   // 000000009B08: 807C31FF 00000B00
	buffer_load_dword v73, s[20:23], 0 offen lds               // 000000009B10: E0511000 80050049
	s_add_u32 m0, 0xc00, s49                                   // 000000009B18: 807C31FF 00000C00
	buffer_load_dword v74, s[20:23], 0 offen lds               // 000000009B20: E0511000 8005004A
	s_add_u32 m0, 0xd00, s49                                   // 000000009B28: 807C31FF 00000D00
	buffer_load_dword v75, s[20:23], 0 offen lds               // 000000009B30: E0511000 8005004B
	s_add_u32 m0, 0xe00, s49                                   // 000000009B38: 807C31FF 00000E00
	buffer_load_dword v76, s[20:23], 0 offen lds               // 000000009B40: E0511000 8005004C
	s_add_u32 m0, 0xf00, s49                                   // 000000009B48: 807C31FF 00000F00
	buffer_load_dword v77, s[20:23], 0 offen lds               // 000000009B50: E0511000 8005004D
	s_add_u32 m0, 0, s50                                       // 000000009B58: 807C3280
	s_waitcnt vmcnt(18)                                        // 000000009B5C: BF8C4F72
	s_barrier                                                  // 000000009B60: BF8A0000
	v_mfma_f32_16x16x32_fp8_fp8 v[112:115], a[144:145], a[64:65], v[112:115]// 000000009B64: D3F30070 1DC28190
	buffer_load_dwordx4 a[136:139], v78, s[84:87], 0 offen     // 000000009B6C: E05C1000 8095884E
	v_mfma_f32_16x16x32_fp8_fp8 v[112:115], a[146:147], a[66:67], v[112:115]// 000000009B74: D3F30070 1DC28592
	v_mfma_f32_16x16x32_fp8_fp8 v[112:115], a[148:149], a[68:69], v[112:115]// 000000009B7C: D3F30070 1DC28994
	ds_read_b128 a[0:3], v2                                    // 000000009B84: DBFE0000 00000002
	ds_read_b128 a[4:7], v2 offset:64                          // 000000009B8C: DBFE0040 04000002
	v_mfma_f32_16x16x32_fp8_fp8 v[112:115], a[150:151], a[70:71], v[112:115]// 000000009B94: D3F30070 1DC28D96
	v_mfma_f32_16x16x32_fp8_fp8 v[116:119], a[144:145], a[72:73], v[116:119]// 000000009B9C: D3F30074 1DD29190
	buffer_load_dwordx4 a[140:143], v78, s[84:87], 0 offen offset:1024// 000000009BA4: E05C1400 80958C4E
	v_mfma_f32_16x16x32_fp8_fp8 v[116:119], a[146:147], a[74:75], v[116:119]// 000000009BAC: D3F30074 1DD29592
	v_mfma_f32_16x16x32_fp8_fp8 v[116:119], a[148:149], a[76:77], v[116:119]// 000000009BB4: D3F30074 1DD29994
	ds_read_b128 a[8:11], v2 offset:512                        // 000000009BBC: DBFE0200 08000002
	ds_read_b128 a[12:15], v2 offset:576                       // 000000009BC4: DBFE0240 0C000002
	v_mfma_f32_16x16x32_fp8_fp8 v[116:119], a[150:151], a[78:79], v[116:119]// 000000009BCC: D3F30074 1DD29D96
	v_mfma_f32_16x16x32_fp8_fp8 v[120:123], a[144:145], a[80:81], v[120:123]// 000000009BD4: D3F30078 1DE2A190
	v_mfma_f32_16x16x32_fp8_fp8 v[120:123], a[146:147], a[82:83], v[120:123]// 000000009BDC: D3F30078 1DE2A592
	v_mfma_f32_16x16x32_fp8_fp8 v[120:123], a[148:149], a[84:85], v[120:123]// 000000009BE4: D3F30078 1DE2A994
	ds_read_b128 a[16:19], v2 offset:1024                      // 000000009BEC: DBFE0400 10000002
	ds_read_b128 a[20:23], v2 offset:1088                      // 000000009BF4: DBFE0440 14000002
	v_mfma_f32_16x16x32_fp8_fp8 v[120:123], a[150:151], a[86:87], v[120:123]// 000000009BFC: D3F30078 1DE2AD96
	v_mfma_f32_16x16x32_fp8_fp8 v[124:127], a[144:145], a[88:89], v[124:127]// 000000009C04: D3F3007C 1DF2B190
	v_mfma_f32_16x16x32_fp8_fp8 v[124:127], a[146:147], a[90:91], v[124:127]// 000000009C0C: D3F3007C 1DF2B592
	v_mfma_f32_16x16x32_fp8_fp8 v[124:127], a[148:149], a[92:93], v[124:127]// 000000009C14: D3F3007C 1DF2B994
	ds_read_b128 a[24:27], v2 offset:1536                      // 000000009C1C: DBFE0600 18000002
	ds_read_b128 a[28:31], v2 offset:1600                      // 000000009C24: DBFE0640 1C000002
	v_mfma_f32_16x16x32_fp8_fp8 v[124:127], a[150:151], a[94:95], v[124:127]// 000000009C2C: D3F3007C 1DF2BD96
	v_mfma_f32_16x16x32_fp8_fp8 v[128:131], a[144:145], a[96:97], v[128:131]// 000000009C34: D3F30080 1E02C190
	v_mfma_f32_16x16x32_fp8_fp8 v[128:131], a[146:147], a[98:99], v[128:131]// 000000009C3C: D3F30080 1E02C592
	v_mfma_f32_16x16x32_fp8_fp8 v[128:131], a[148:149], a[100:101], v[128:131]// 000000009C44: D3F30080 1E02C994
	ds_read_b128 a[32:35], v2 offset:2048                      // 000000009C4C: DBFE0800 20000002
	ds_read_b128 a[36:39], v2 offset:2112                      // 000000009C54: DBFE0840 24000002
	v_mfma_f32_16x16x32_fp8_fp8 v[128:131], a[150:151], a[102:103], v[128:131]// 000000009C5C: D3F30080 1E02CD96
	v_mfma_f32_16x16x32_fp8_fp8 v[132:135], a[144:145], a[104:105], v[132:135]// 000000009C64: D3F30084 1E12D190
	v_mfma_f32_16x16x32_fp8_fp8 v[132:135], a[146:147], a[106:107], v[132:135]// 000000009C6C: D3F30084 1E12D592
	v_mfma_f32_16x16x32_fp8_fp8 v[132:135], a[148:149], a[108:109], v[132:135]// 000000009C74: D3F30084 1E12D994
	ds_read_b128 a[40:43], v2 offset:2560                      // 000000009C7C: DBFE0A00 28000002
	ds_read_b128 a[44:47], v2 offset:2624                      // 000000009C84: DBFE0A40 2C000002
	v_mfma_f32_16x16x32_fp8_fp8 v[132:135], a[150:151], a[110:111], v[132:135]// 000000009C8C: D3F30084 1E12DD96
	v_mfma_f32_16x16x32_fp8_fp8 v[136:139], a[144:145], a[112:113], v[136:139]// 000000009C94: D3F30088 1E22E190
	s_add_u32 s60, 0x180, s80                                  // 000000009C9C: 803C50FF 00000180
	s_cmp_lt_u32 s60, s81                                      // 000000009CA4: BF0A513C
	s_cselect_b32 s57, s57, 0                                  // 000000009CA8: 85398039
	v_mfma_f32_16x16x32_fp8_fp8 v[136:139], a[146:147], a[114:115], v[136:139]// 000000009CAC: D3F30088 1E22E592
	s_add_u32 s60, 0x100, s80                                  // 000000009CB4: 803C50FF 00000100
	s_cmp_lt_u32 s60, s81                                      // 000000009CBC: BF0A513C
	s_cselect_b32 s58, s58, 0                                  // 000000009CC0: 853A803A
	v_mfma_f32_16x16x32_fp8_fp8 v[136:139], a[148:149], a[116:117], v[136:139]// 000000009CC4: D3F30088 1E22E994
	ds_read_b128 a[48:51], v2 offset:3072                      // 000000009CCC: DBFE0C00 30000002
	ds_read_b128 a[52:55], v2 offset:3136                      // 000000009CD4: DBFE0C40 34000002
	s_add_u32 s60, 0x100, s80                                  // 000000009CDC: 803C50FF 00000100
	s_cmp_lt_u32 s60, s81                                      // 000000009CE4: BF0A513C
	s_cselect_b32 s83, s83, 0                                  // 000000009CE8: 85538053
	v_mfma_f32_16x16x32_fp8_fp8 v[136:139], a[150:151], a[118:119], v[136:139]// 000000009CEC: D3F30088 1E22ED96
	s_add_u32 s24, s58, s24                                    // 000000009CF4: 8018183A
	s_addc_u32 s25, 0, s25                                     // 000000009CF8: 82191980
	v_mfma_f32_16x16x32_fp8_fp8 v[140:143], a[144:145], a[120:121], v[140:143]// 000000009CFC: D3F3008C 1E32F190
	s_add_u32 s20, s57, s20                                    // 000000009D04: 80141439
	s_addc_u32 s21, 0, s21                                     // 000000009D08: 82151580
	v_mfma_f32_16x16x32_fp8_fp8 v[140:143], a[146:147], a[122:123], v[140:143]// 000000009D0C: D3F3008C 1E32F592
	s_add_u32 s84, s83, s84                                    // 000000009D14: 80545453
	s_addc_u32 s85, 0, s85                                     // 000000009D18: 82555580
	v_mfma_f32_16x16x32_fp8_fp8 v[140:143], a[148:149], a[124:125], v[140:143]// 000000009D1C: D3F3008C 1E32F994
	ds_read_b128 a[56:59], v2 offset:3584                      // 000000009D24: DBFE0E00 38000002
	ds_read_b128 a[60:63], v2 offset:3648                      // 000000009D2C: DBFE0E40 3C000002
	v_mfma_f32_16x16x32_fp8_fp8 v[140:143], a[150:151], a[126:127], v[140:143]// 000000009D34: D3F3008C 1E32FD96
	s_addk_i32 s80, 0x80                                       // 000000009D3C: B7500080
	s_cmp_lt_i32 s80, s81                                      // 000000009D40: BF045150
	s_cbranch_scc0 label_1CD6                                  // 000000009D44: BF840001
	s_branch label_16DB                                        // 000000009D48: BF82FA05

0000000000009d4c <label_1CD6>:
	v_mul_f32_dpp v80, v24, v80 row_newbcast:0 row_mask:0xf bank_mask:0xf// 000000009D4C: 0AA0A0FA FF015018
	v_mul_f32_dpp v81, v24, v81 row_newbcast:1 row_mask:0xf bank_mask:0xf// 000000009D54: 0AA2A2FA FF015118
	v_mul_f32_dpp v82, v24, v82 row_newbcast:2 row_mask:0xf bank_mask:0xf// 000000009D5C: 0AA4A4FA FF015218
	v_mul_f32_dpp v83, v24, v83 row_newbcast:3 row_mask:0xf bank_mask:0xf// 000000009D64: 0AA6A6FA FF015318
	v_mul_f32_dpp v84, v24, v84 row_newbcast:0 row_mask:0xf bank_mask:0xf// 000000009D6C: 0AA8A8FA FF015018
	v_mul_f32_dpp v85, v24, v85 row_newbcast:1 row_mask:0xf bank_mask:0xf// 000000009D74: 0AAAAAFA FF015118
	v_mul_f32_dpp v86, v24, v86 row_newbcast:2 row_mask:0xf bank_mask:0xf// 000000009D7C: 0AACACFA FF015218
	v_mul_f32_dpp v87, v24, v87 row_newbcast:3 row_mask:0xf bank_mask:0xf// 000000009D84: 0AAEAEFA FF015318
	v_mul_f32_dpp v88, v24, v88 row_newbcast:0 row_mask:0xf bank_mask:0xf// 000000009D8C: 0AB0B0FA FF015018
	v_mul_f32_dpp v89, v24, v89 row_newbcast:1 row_mask:0xf bank_mask:0xf// 000000009D94: 0AB2B2FA FF015118
	v_mul_f32_dpp v90, v24, v90 row_newbcast:2 row_mask:0xf bank_mask:0xf// 000000009D9C: 0AB4B4FA FF015218
	v_mul_f32_dpp v91, v24, v91 row_newbcast:3 row_mask:0xf bank_mask:0xf// 000000009DA4: 0AB6B6FA FF015318
	v_mul_f32_dpp v92, v24, v92 row_newbcast:0 row_mask:0xf bank_mask:0xf// 000000009DAC: 0AB8B8FA FF015018
	v_mul_f32_dpp v93, v24, v93 row_newbcast:1 row_mask:0xf bank_mask:0xf// 000000009DB4: 0ABABAFA FF015118
	v_mul_f32_dpp v94, v24, v94 row_newbcast:2 row_mask:0xf bank_mask:0xf// 000000009DBC: 0ABCBCFA FF015218
	v_mul_f32_dpp v95, v24, v95 row_newbcast:3 row_mask:0xf bank_mask:0xf// 000000009DC4: 0ABEBEFA FF015318
	v_mul_f32_dpp v96, v24, v96 row_newbcast:0 row_mask:0xf bank_mask:0xf// 000000009DCC: 0AC0C0FA FF015018
	v_mul_f32_dpp v97, v24, v97 row_newbcast:1 row_mask:0xf bank_mask:0xf// 000000009DD4: 0AC2C2FA FF015118
	v_mul_f32_dpp v98, v24, v98 row_newbcast:2 row_mask:0xf bank_mask:0xf// 000000009DDC: 0AC4C4FA FF015218
	v_mul_f32_dpp v99, v24, v99 row_newbcast:3 row_mask:0xf bank_mask:0xf// 000000009DE4: 0AC6C6FA FF015318
	v_mul_f32_dpp v100, v24, v100 row_newbcast:0 row_mask:0xf bank_mask:0xf// 000000009DEC: 0AC8C8FA FF015018
	v_mul_f32_dpp v101, v24, v101 row_newbcast:1 row_mask:0xf bank_mask:0xf// 000000009DF4: 0ACACAFA FF015118
	v_mul_f32_dpp v102, v24, v102 row_newbcast:2 row_mask:0xf bank_mask:0xf// 000000009DFC: 0ACCCCFA FF015218
	v_mul_f32_dpp v103, v24, v103 row_newbcast:3 row_mask:0xf bank_mask:0xf// 000000009E04: 0ACECEFA FF015318
	v_mul_f32_dpp v104, v24, v104 row_newbcast:0 row_mask:0xf bank_mask:0xf// 000000009E0C: 0AD0D0FA FF015018
	v_mul_f32_dpp v105, v24, v105 row_newbcast:1 row_mask:0xf bank_mask:0xf// 000000009E14: 0AD2D2FA FF015118
	v_mul_f32_dpp v106, v24, v106 row_newbcast:2 row_mask:0xf bank_mask:0xf// 000000009E1C: 0AD4D4FA FF015218
	v_mul_f32_dpp v107, v24, v107 row_newbcast:3 row_mask:0xf bank_mask:0xf// 000000009E24: 0AD6D6FA FF015318
	v_mul_f32_dpp v108, v24, v108 row_newbcast:0 row_mask:0xf bank_mask:0xf// 000000009E2C: 0AD8D8FA FF015018
	v_mul_f32_dpp v109, v24, v109 row_newbcast:1 row_mask:0xf bank_mask:0xf// 000000009E34: 0ADADAFA FF015118
	v_mul_f32_dpp v110, v24, v110 row_newbcast:2 row_mask:0xf bank_mask:0xf// 000000009E3C: 0ADCDCFA FF015218
	v_mul_f32_dpp v111, v24, v111 row_newbcast:3 row_mask:0xf bank_mask:0xf// 000000009E44: 0ADEDEFA FF015318
	v_mul_f32_dpp v112, v27, v112 row_newbcast:0 row_mask:0xf bank_mask:0xf// 000000009E4C: 0AE0E0FA FF01501B
	v_mul_f32_dpp v113, v27, v113 row_newbcast:1 row_mask:0xf bank_mask:0xf// 000000009E54: 0AE2E2FA FF01511B
	v_mul_f32_dpp v114, v27, v114 row_newbcast:2 row_mask:0xf bank_mask:0xf// 000000009E5C: 0AE4E4FA FF01521B
	v_mul_f32_dpp v115, v27, v115 row_newbcast:3 row_mask:0xf bank_mask:0xf// 000000009E64: 0AE6E6FA FF01531B
	v_mul_f32_dpp v116, v27, v116 row_newbcast:0 row_mask:0xf bank_mask:0xf// 000000009E6C: 0AE8E8FA FF01501B
	v_mul_f32_dpp v117, v27, v117 row_newbcast:1 row_mask:0xf bank_mask:0xf// 000000009E74: 0AEAEAFA FF01511B
	v_mul_f32_dpp v118, v27, v118 row_newbcast:2 row_mask:0xf bank_mask:0xf// 000000009E7C: 0AECECFA FF01521B
	v_mul_f32_dpp v119, v27, v119 row_newbcast:3 row_mask:0xf bank_mask:0xf// 000000009E84: 0AEEEEFA FF01531B
	v_mul_f32_dpp v120, v27, v120 row_newbcast:0 row_mask:0xf bank_mask:0xf// 000000009E8C: 0AF0F0FA FF01501B
	v_mul_f32_dpp v121, v27, v121 row_newbcast:1 row_mask:0xf bank_mask:0xf// 000000009E94: 0AF2F2FA FF01511B
	v_mul_f32_dpp v122, v27, v122 row_newbcast:2 row_mask:0xf bank_mask:0xf// 000000009E9C: 0AF4F4FA FF01521B
	v_mul_f32_dpp v123, v27, v123 row_newbcast:3 row_mask:0xf bank_mask:0xf// 000000009EA4: 0AF6F6FA FF01531B
	v_mul_f32_dpp v124, v27, v124 row_newbcast:0 row_mask:0xf bank_mask:0xf// 000000009EAC: 0AF8F8FA FF01501B
	v_mul_f32_dpp v125, v27, v125 row_newbcast:1 row_mask:0xf bank_mask:0xf// 000000009EB4: 0AFAFAFA FF01511B
	v_mul_f32_dpp v126, v27, v126 row_newbcast:2 row_mask:0xf bank_mask:0xf// 000000009EBC: 0AFCFCFA FF01521B
	v_mul_f32_dpp v127, v27, v127 row_newbcast:3 row_mask:0xf bank_mask:0xf// 000000009EC4: 0AFEFEFA FF01531B
	v_mul_f32_dpp v128, v27, v128 row_newbcast:0 row_mask:0xf bank_mask:0xf// 000000009ECC: 0B0100FA FF01501B
	v_mul_f32_dpp v129, v27, v129 row_newbcast:1 row_mask:0xf bank_mask:0xf// 000000009ED4: 0B0302FA FF01511B
	v_mul_f32_dpp v130, v27, v130 row_newbcast:2 row_mask:0xf bank_mask:0xf// 000000009EDC: 0B0504FA FF01521B
	v_mul_f32_dpp v131, v27, v131 row_newbcast:3 row_mask:0xf bank_mask:0xf// 000000009EE4: 0B0706FA FF01531B
	v_mul_f32_dpp v132, v27, v132 row_newbcast:0 row_mask:0xf bank_mask:0xf// 000000009EEC: 0B0908FA FF01501B
	v_mul_f32_dpp v133, v27, v133 row_newbcast:1 row_mask:0xf bank_mask:0xf// 000000009EF4: 0B0B0AFA FF01511B
	v_mul_f32_dpp v134, v27, v134 row_newbcast:2 row_mask:0xf bank_mask:0xf// 000000009EFC: 0B0D0CFA FF01521B
	v_mul_f32_dpp v135, v27, v135 row_newbcast:3 row_mask:0xf bank_mask:0xf// 000000009F04: 0B0F0EFA FF01531B
	v_mul_f32_dpp v136, v27, v136 row_newbcast:0 row_mask:0xf bank_mask:0xf// 000000009F0C: 0B1110FA FF01501B
	v_mul_f32_dpp v137, v27, v137 row_newbcast:1 row_mask:0xf bank_mask:0xf// 000000009F14: 0B1312FA FF01511B
	v_mul_f32_dpp v138, v27, v138 row_newbcast:2 row_mask:0xf bank_mask:0xf// 000000009F1C: 0B1514FA FF01521B
	v_mul_f32_dpp v139, v27, v139 row_newbcast:3 row_mask:0xf bank_mask:0xf// 000000009F24: 0B1716FA FF01531B
	v_mul_f32_dpp v140, v27, v140 row_newbcast:0 row_mask:0xf bank_mask:0xf// 000000009F2C: 0B1918FA FF01501B
	v_mul_f32_dpp v141, v27, v141 row_newbcast:1 row_mask:0xf bank_mask:0xf// 000000009F34: 0B1B1AFA FF01511B
	v_mul_f32_dpp v142, v27, v142 row_newbcast:2 row_mask:0xf bank_mask:0xf// 000000009F3C: 0B1D1CFA FF01521B
	v_mul_f32_dpp v143, v27, v143 row_newbcast:3 row_mask:0xf bank_mask:0xf// 000000009F44: 0B1F1EFA FF01531B
	v_mov_b32_e32 v4, v38                                      // 000000009F4C: 7E080326
	v_mov_b32_e32 v5, v4                                       // 000000009F50: 7E0A0304
	v_pk_mul_f32 v[80:81], v[4:5], v[80:81]                    // 000000009F54: D3B14050 1802A104
	v_pk_mul_f32 v[112:113], v[4:5], v[112:113]                // 000000009F5C: D3B14070 1802E104
	v_pk_mul_f32 v[82:83], v[4:5], v[82:83]                    // 000000009F64: D3B14052 1802A504
	v_pk_mul_f32 v[114:115], v[4:5], v[114:115]                // 000000009F6C: D3B14072 1802E504
	v_mov_b32_e32 v4, v39                                      // 000000009F74: 7E080327
	v_mov_b32_e32 v5, v4                                       // 000000009F78: 7E0A0304
	v_pk_mul_f32 v[84:85], v[4:5], v[84:85]                    // 000000009F7C: D3B14054 1802A904
	v_pk_mul_f32 v[116:117], v[4:5], v[116:117]                // 000000009F84: D3B14074 1802E904
	v_pk_mul_f32 v[86:87], v[4:5], v[86:87]                    // 000000009F8C: D3B14056 1802AD04
	v_pk_mul_f32 v[118:119], v[4:5], v[118:119]                // 000000009F94: D3B14076 1802ED04
	v_mov_b32_e32 v4, v40                                      // 000000009F9C: 7E080328
	v_mov_b32_e32 v5, v4                                       // 000000009FA0: 7E0A0304
	v_pk_mul_f32 v[88:89], v[4:5], v[88:89]                    // 000000009FA4: D3B14058 1802B104
	v_pk_mul_f32 v[120:121], v[4:5], v[120:121]                // 000000009FAC: D3B14078 1802F104
	v_pk_mul_f32 v[90:91], v[4:5], v[90:91]                    // 000000009FB4: D3B1405A 1802B504
	v_pk_mul_f32 v[122:123], v[4:5], v[122:123]                // 000000009FBC: D3B1407A 1802F504
	v_mov_b32_e32 v4, v41                                      // 000000009FC4: 7E080329
	v_mov_b32_e32 v5, v4                                       // 000000009FC8: 7E0A0304
	v_pk_mul_f32 v[92:93], v[4:5], v[92:93]                    // 000000009FCC: D3B1405C 1802B904
	v_pk_mul_f32 v[124:125], v[4:5], v[124:125]                // 000000009FD4: D3B1407C 1802F904
	v_pk_mul_f32 v[94:95], v[4:5], v[94:95]                    // 000000009FDC: D3B1405E 1802BD04
	v_pk_mul_f32 v[126:127], v[4:5], v[126:127]                // 000000009FE4: D3B1407E 1802FD04
	v_mov_b32_e32 v4, v42                                      // 000000009FEC: 7E08032A
	v_mov_b32_e32 v5, v4                                       // 000000009FF0: 7E0A0304
	v_pk_mul_f32 v[96:97], v[4:5], v[96:97]                    // 000000009FF4: D3B14060 1802C104
	v_pk_mul_f32 v[128:129], v[4:5], v[128:129]                // 000000009FFC: D3B14080 18030104
	v_pk_mul_f32 v[98:99], v[4:5], v[98:99]                    // 00000000A004: D3B14062 1802C504
	v_pk_mul_f32 v[130:131], v[4:5], v[130:131]                // 00000000A00C: D3B14082 18030504
	v_mov_b32_e32 v4, v43                                      // 00000000A014: 7E08032B
	v_mov_b32_e32 v5, v4                                       // 00000000A018: 7E0A0304
	v_pk_mul_f32 v[100:101], v[4:5], v[100:101]                // 00000000A01C: D3B14064 1802C904
	v_pk_mul_f32 v[132:133], v[4:5], v[132:133]                // 00000000A024: D3B14084 18030904
	v_pk_mul_f32 v[102:103], v[4:5], v[102:103]                // 00000000A02C: D3B14066 1802CD04
	v_pk_mul_f32 v[134:135], v[4:5], v[134:135]                // 00000000A034: D3B14086 18030D04
	v_mov_b32_e32 v4, v44                                      // 00000000A03C: 7E08032C
	v_mov_b32_e32 v5, v4                                       // 00000000A040: 7E0A0304
	v_pk_mul_f32 v[104:105], v[4:5], v[104:105]                // 00000000A044: D3B14068 1802D104
	v_pk_mul_f32 v[136:137], v[4:5], v[136:137]                // 00000000A04C: D3B14088 18031104
	v_pk_mul_f32 v[106:107], v[4:5], v[106:107]                // 00000000A054: D3B1406A 1802D504
	v_pk_mul_f32 v[138:139], v[4:5], v[138:139]                // 00000000A05C: D3B1408A 18031504
	v_mov_b32_e32 v4, v45                                      // 00000000A064: 7E08032D
	v_mov_b32_e32 v5, v4                                       // 00000000A068: 7E0A0304
	v_pk_mul_f32 v[108:109], v[4:5], v[108:109]                // 00000000A06C: D3B1406C 1802D904
	v_pk_mul_f32 v[140:141], v[4:5], v[140:141]                // 00000000A074: D3B1408C 18031904
	v_pk_mul_f32 v[110:111], v[4:5], v[110:111]                // 00000000A07C: D3B1406E 1802DD04
	v_pk_mul_f32 v[142:143], v[4:5], v[142:143]                // 00000000A084: D3B1408E 18031D04
	s_cmp_eq_u32 s88, 0                                        // 00000000A08C: BF068058
	s_cbranch_scc0 label_2399                                  // 00000000A090: BF8405F1
	s_cmp_eq_u32 s89, 0                                        // 00000000A094: BF068059
	s_cbranch_scc1 label_1EEF                                  // 00000000A098: BF850145
	v_mov_b32_e32 v8, v1                                       // 00000000A09C: 7E100301
	v_mov_b32_e32 v9, v1                                       // 00000000A0A0: 7E120301
	s_mov_b32 s60, s6                                          // 00000000A0A4: BEBC0006
	s_mov_b32 s61, s6                                          // 00000000A0A8: BEBD0006
	v_pk_mul_f32 v[4:5], v[80:81], v[80:81]                    // 00000000A0AC: D3B14004 1802A150
	v_pk_mul_f32 v[6:7], v[82:83], v[82:83]                    // 00000000A0B4: D3B14006 1802A552
	v_pk_fma_f32 v[4:5], v[4:5], s[78:79], v[8:9]              // 00000000A0BC: D3B04004 1C209D04
	v_pk_fma_f32 v[6:7], v[6:7], s[78:79], v[8:9]              // 00000000A0C4: D3B04006 1C209D06
	v_pk_mul_f32 v[4:5], v[4:5], v[80:81]                      // 00000000A0CC: D3B14004 1802A104
	v_pk_mul_f32 v[6:7], v[6:7], v[82:83]                      // 00000000A0D4: D3B14006 1802A506
	v_pk_mul_f32 v[4:5], v[4:5], s[60:61]                      // 00000000A0DC: D3B14004 18007904
	v_pk_mul_f32 v[6:7], v[6:7], s[60:61]                      // 00000000A0E4: D3B14006 18007906
	v_exp_f32_e32 v4, v4                                       // 00000000A0EC: 7E084104
	v_exp_f32_e32 v5, v5                                       // 00000000A0F0: 7E0A4105
	v_exp_f32_e32 v6, v6                                       // 00000000A0F4: 7E0C4106
	v_exp_f32_e32 v7, v7                                       // 00000000A0F8: 7E0E4107
	v_add_f32_e64 v4, v4, 1.0                                  // 00000000A0FC: D1010004 0001E504
	v_add_f32_e64 v5, v5, 1.0                                  // 00000000A104: D1010005 0001E505
	v_add_f32_e64 v6, v6, 1.0                                  // 00000000A10C: D1010006 0001E506
	v_add_f32_e64 v7, v7, 1.0                                  // 00000000A114: D1010007 0001E507
	v_rcp_f32_e32 v4, v4                                       // 00000000A11C: 7E084504
	v_rcp_f32_e32 v5, v5                                       // 00000000A120: 7E0A4505
	v_rcp_f32_e32 v6, v6                                       // 00000000A124: 7E0C4506
	v_rcp_f32_e32 v7, v7                                       // 00000000A128: 7E0E4507
	v_mul_f32_e32 v80, v80, v4                                 // 00000000A12C: 0AA00950
	v_mul_f32_e32 v81, v81, v5                                 // 00000000A130: 0AA20B51
	v_mul_f32_e32 v82, v82, v6                                 // 00000000A134: 0AA40D52
	v_mul_f32_e32 v83, v83, v7                                 // 00000000A138: 0AA60F53
	v_mul_f32_e32 v80, v80, v112                               // 00000000A13C: 0AA0E150
	v_mul_f32_e32 v81, v81, v113                               // 00000000A140: 0AA2E351
	v_mul_f32_e32 v82, v82, v114                               // 00000000A144: 0AA4E552
	v_mul_f32_e32 v83, v83, v115                               // 00000000A148: 0AA6E753
	v_pk_mul_f32 v[4:5], v[84:85], v[84:85]                    // 00000000A14C: D3B14004 1802A954
	v_pk_mul_f32 v[6:7], v[86:87], v[86:87]                    // 00000000A154: D3B14006 1802AD56
	v_pk_fma_f32 v[4:5], v[4:5], s[78:79], v[8:9]              // 00000000A15C: D3B04004 1C209D04
	v_pk_fma_f32 v[6:7], v[6:7], s[78:79], v[8:9]              // 00000000A164: D3B04006 1C209D06
	v_pk_mul_f32 v[4:5], v[4:5], v[84:85]                      // 00000000A16C: D3B14004 1802A904
	v_pk_mul_f32 v[6:7], v[6:7], v[86:87]                      // 00000000A174: D3B14006 1802AD06
	v_pk_mul_f32 v[4:5], v[4:5], s[60:61]                      // 00000000A17C: D3B14004 18007904
	v_pk_mul_f32 v[6:7], v[6:7], s[60:61]                      // 00000000A184: D3B14006 18007906
	v_exp_f32_e32 v4, v4                                       // 00000000A18C: 7E084104
	v_exp_f32_e32 v5, v5                                       // 00000000A190: 7E0A4105
	v_exp_f32_e32 v6, v6                                       // 00000000A194: 7E0C4106
	v_exp_f32_e32 v7, v7                                       // 00000000A198: 7E0E4107
	v_add_f32_e64 v4, v4, 1.0                                  // 00000000A19C: D1010004 0001E504
	v_add_f32_e64 v5, v5, 1.0                                  // 00000000A1A4: D1010005 0001E505
	v_add_f32_e64 v6, v6, 1.0                                  // 00000000A1AC: D1010006 0001E506
	v_add_f32_e64 v7, v7, 1.0                                  // 00000000A1B4: D1010007 0001E507
	v_rcp_f32_e32 v4, v4                                       // 00000000A1BC: 7E084504
	v_rcp_f32_e32 v5, v5                                       // 00000000A1C0: 7E0A4505
	v_rcp_f32_e32 v6, v6                                       // 00000000A1C4: 7E0C4506
	v_rcp_f32_e32 v7, v7                                       // 00000000A1C8: 7E0E4507
	v_mul_f32_e32 v84, v84, v4                                 // 00000000A1CC: 0AA80954
	v_mul_f32_e32 v85, v85, v5                                 // 00000000A1D0: 0AAA0B55
	v_mul_f32_e32 v86, v86, v6                                 // 00000000A1D4: 0AAC0D56
	v_mul_f32_e32 v87, v87, v7                                 // 00000000A1D8: 0AAE0F57
	v_mul_f32_e32 v84, v84, v116                               // 00000000A1DC: 0AA8E954
	v_mul_f32_e32 v85, v85, v117                               // 00000000A1E0: 0AAAEB55
	v_mul_f32_e32 v86, v86, v118                               // 00000000A1E4: 0AACED56
	v_mul_f32_e32 v87, v87, v119                               // 00000000A1E8: 0AAEEF57
	v_pk_mul_f32 v[4:5], v[88:89], v[88:89]                    // 00000000A1EC: D3B14004 1802B158
	v_pk_mul_f32 v[6:7], v[90:91], v[90:91]                    // 00000000A1F4: D3B14006 1802B55A
	v_pk_fma_f32 v[4:5], v[4:5], s[78:79], v[8:9]              // 00000000A1FC: D3B04004 1C209D04
	v_pk_fma_f32 v[6:7], v[6:7], s[78:79], v[8:9]              // 00000000A204: D3B04006 1C209D06
	v_pk_mul_f32 v[4:5], v[4:5], v[88:89]                      // 00000000A20C: D3B14004 1802B104
	v_pk_mul_f32 v[6:7], v[6:7], v[90:91]                      // 00000000A214: D3B14006 1802B506
	v_pk_mul_f32 v[4:5], v[4:5], s[60:61]                      // 00000000A21C: D3B14004 18007904
	v_pk_mul_f32 v[6:7], v[6:7], s[60:61]                      // 00000000A224: D3B14006 18007906
	v_exp_f32_e32 v4, v4                                       // 00000000A22C: 7E084104
	v_exp_f32_e32 v5, v5                                       // 00000000A230: 7E0A4105
	v_exp_f32_e32 v6, v6                                       // 00000000A234: 7E0C4106
	v_exp_f32_e32 v7, v7                                       // 00000000A238: 7E0E4107
	v_add_f32_e64 v4, v4, 1.0                                  // 00000000A23C: D1010004 0001E504
	v_add_f32_e64 v5, v5, 1.0                                  // 00000000A244: D1010005 0001E505
	v_add_f32_e64 v6, v6, 1.0                                  // 00000000A24C: D1010006 0001E506
	v_add_f32_e64 v7, v7, 1.0                                  // 00000000A254: D1010007 0001E507
	v_rcp_f32_e32 v4, v4                                       // 00000000A25C: 7E084504
	v_rcp_f32_e32 v5, v5                                       // 00000000A260: 7E0A4505
	v_rcp_f32_e32 v6, v6                                       // 00000000A264: 7E0C4506
	v_rcp_f32_e32 v7, v7                                       // 00000000A268: 7E0E4507
	v_mul_f32_e32 v88, v88, v4                                 // 00000000A26C: 0AB00958
	v_mul_f32_e32 v89, v89, v5                                 // 00000000A270: 0AB20B59
	v_mul_f32_e32 v90, v90, v6                                 // 00000000A274: 0AB40D5A
	v_mul_f32_e32 v91, v91, v7                                 // 00000000A278: 0AB60F5B
	v_mul_f32_e32 v88, v88, v120                               // 00000000A27C: 0AB0F158
	v_mul_f32_e32 v89, v89, v121                               // 00000000A280: 0AB2F359
	v_mul_f32_e32 v90, v90, v122                               // 00000000A284: 0AB4F55A
	v_mul_f32_e32 v91, v91, v123                               // 00000000A288: 0AB6F75B
	v_pk_mul_f32 v[4:5], v[92:93], v[92:93]                    // 00000000A28C: D3B14004 1802B95C
	v_pk_mul_f32 v[6:7], v[94:95], v[94:95]                    // 00000000A294: D3B14006 1802BD5E
	v_pk_fma_f32 v[4:5], v[4:5], s[78:79], v[8:9]              // 00000000A29C: D3B04004 1C209D04
	v_pk_fma_f32 v[6:7], v[6:7], s[78:79], v[8:9]              // 00000000A2A4: D3B04006 1C209D06
	v_pk_mul_f32 v[4:5], v[4:5], v[92:93]                      // 00000000A2AC: D3B14004 1802B904
	v_pk_mul_f32 v[6:7], v[6:7], v[94:95]                      // 00000000A2B4: D3B14006 1802BD06
	v_pk_mul_f32 v[4:5], v[4:5], s[60:61]                      // 00000000A2BC: D3B14004 18007904
	v_pk_mul_f32 v[6:7], v[6:7], s[60:61]                      // 00000000A2C4: D3B14006 18007906
	v_exp_f32_e32 v4, v4                                       // 00000000A2CC: 7E084104
	v_exp_f32_e32 v5, v5                                       // 00000000A2D0: 7E0A4105
	v_exp_f32_e32 v6, v6                                       // 00000000A2D4: 7E0C4106
	v_exp_f32_e32 v7, v7                                       // 00000000A2D8: 7E0E4107
	v_add_f32_e64 v4, v4, 1.0                                  // 00000000A2DC: D1010004 0001E504
	v_add_f32_e64 v5, v5, 1.0                                  // 00000000A2E4: D1010005 0001E505
	v_add_f32_e64 v6, v6, 1.0                                  // 00000000A2EC: D1010006 0001E506
	v_add_f32_e64 v7, v7, 1.0                                  // 00000000A2F4: D1010007 0001E507
	v_rcp_f32_e32 v4, v4                                       // 00000000A2FC: 7E084504
	v_rcp_f32_e32 v5, v5                                       // 00000000A300: 7E0A4505
	v_rcp_f32_e32 v6, v6                                       // 00000000A304: 7E0C4506
	v_rcp_f32_e32 v7, v7                                       // 00000000A308: 7E0E4507
	v_mul_f32_e32 v92, v92, v4                                 // 00000000A30C: 0AB8095C
	v_mul_f32_e32 v93, v93, v5                                 // 00000000A310: 0ABA0B5D
	v_mul_f32_e32 v94, v94, v6                                 // 00000000A314: 0ABC0D5E
	v_mul_f32_e32 v95, v95, v7                                 // 00000000A318: 0ABE0F5F
	v_mul_f32_e32 v92, v92, v124                               // 00000000A31C: 0AB8F95C
	v_mul_f32_e32 v93, v93, v125                               // 00000000A320: 0ABAFB5D
	v_mul_f32_e32 v94, v94, v126                               // 00000000A324: 0ABCFD5E
	v_mul_f32_e32 v95, v95, v127                               // 00000000A328: 0ABEFF5F
	v_pk_mul_f32 v[4:5], v[96:97], v[96:97]                    // 00000000A32C: D3B14004 1802C160
	v_pk_mul_f32 v[6:7], v[98:99], v[98:99]                    // 00000000A334: D3B14006 1802C562
	v_pk_fma_f32 v[4:5], v[4:5], s[78:79], v[8:9]              // 00000000A33C: D3B04004 1C209D04
	v_pk_fma_f32 v[6:7], v[6:7], s[78:79], v[8:9]              // 00000000A344: D3B04006 1C209D06
	v_pk_mul_f32 v[4:5], v[4:5], v[96:97]                      // 00000000A34C: D3B14004 1802C104
	v_pk_mul_f32 v[6:7], v[6:7], v[98:99]                      // 00000000A354: D3B14006 1802C506
	v_pk_mul_f32 v[4:5], v[4:5], s[60:61]                      // 00000000A35C: D3B14004 18007904
	v_pk_mul_f32 v[6:7], v[6:7], s[60:61]                      // 00000000A364: D3B14006 18007906
	v_exp_f32_e32 v4, v4                                       // 00000000A36C: 7E084104
	v_exp_f32_e32 v5, v5                                       // 00000000A370: 7E0A4105
	v_exp_f32_e32 v6, v6                                       // 00000000A374: 7E0C4106
	v_exp_f32_e32 v7, v7                                       // 00000000A378: 7E0E4107
	v_add_f32_e64 v4, v4, 1.0                                  // 00000000A37C: D1010004 0001E504
	v_add_f32_e64 v5, v5, 1.0                                  // 00000000A384: D1010005 0001E505
	v_add_f32_e64 v6, v6, 1.0                                  // 00000000A38C: D1010006 0001E506
	v_add_f32_e64 v7, v7, 1.0                                  // 00000000A394: D1010007 0001E507
	v_rcp_f32_e32 v4, v4                                       // 00000000A39C: 7E084504
	v_rcp_f32_e32 v5, v5                                       // 00000000A3A0: 7E0A4505
	v_rcp_f32_e32 v6, v6                                       // 00000000A3A4: 7E0C4506
	v_rcp_f32_e32 v7, v7                                       // 00000000A3A8: 7E0E4507
	v_mul_f32_e32 v96, v96, v4                                 // 00000000A3AC: 0AC00960
	v_mul_f32_e32 v97, v97, v5                                 // 00000000A3B0: 0AC20B61
	v_mul_f32_e32 v98, v98, v6                                 // 00000000A3B4: 0AC40D62
	v_mul_f32_e32 v99, v99, v7                                 // 00000000A3B8: 0AC60F63
	v_mul_f32_e32 v96, v96, v128                               // 00000000A3BC: 0AC10160
	v_mul_f32_e32 v97, v97, v129                               // 00000000A3C0: 0AC30361
	v_mul_f32_e32 v98, v98, v130                               // 00000000A3C4: 0AC50562
	v_mul_f32_e32 v99, v99, v131                               // 00000000A3C8: 0AC70763
	v_pk_mul_f32 v[4:5], v[100:101], v[100:101]                // 00000000A3CC: D3B14004 1802C964
	v_pk_mul_f32 v[6:7], v[102:103], v[102:103]                // 00000000A3D4: D3B14006 1802CD66
	v_pk_fma_f32 v[4:5], v[4:5], s[78:79], v[8:9]              // 00000000A3DC: D3B04004 1C209D04
	v_pk_fma_f32 v[6:7], v[6:7], s[78:79], v[8:9]              // 00000000A3E4: D3B04006 1C209D06
	v_pk_mul_f32 v[4:5], v[4:5], v[100:101]                    // 00000000A3EC: D3B14004 1802C904
	v_pk_mul_f32 v[6:7], v[6:7], v[102:103]                    // 00000000A3F4: D3B14006 1802CD06
	v_pk_mul_f32 v[4:5], v[4:5], s[60:61]                      // 00000000A3FC: D3B14004 18007904
	v_pk_mul_f32 v[6:7], v[6:7], s[60:61]                      // 00000000A404: D3B14006 18007906
	v_exp_f32_e32 v4, v4                                       // 00000000A40C: 7E084104
	v_exp_f32_e32 v5, v5                                       // 00000000A410: 7E0A4105
	v_exp_f32_e32 v6, v6                                       // 00000000A414: 7E0C4106
	v_exp_f32_e32 v7, v7                                       // 00000000A418: 7E0E4107
	v_add_f32_e64 v4, v4, 1.0                                  // 00000000A41C: D1010004 0001E504
	v_add_f32_e64 v5, v5, 1.0                                  // 00000000A424: D1010005 0001E505
	v_add_f32_e64 v6, v6, 1.0                                  // 00000000A42C: D1010006 0001E506
	v_add_f32_e64 v7, v7, 1.0                                  // 00000000A434: D1010007 0001E507
	v_rcp_f32_e32 v4, v4                                       // 00000000A43C: 7E084504
	v_rcp_f32_e32 v5, v5                                       // 00000000A440: 7E0A4505
	v_rcp_f32_e32 v6, v6                                       // 00000000A444: 7E0C4506
	v_rcp_f32_e32 v7, v7                                       // 00000000A448: 7E0E4507
	v_mul_f32_e32 v100, v100, v4                               // 00000000A44C: 0AC80964
	v_mul_f32_e32 v101, v101, v5                               // 00000000A450: 0ACA0B65
	v_mul_f32_e32 v102, v102, v6                               // 00000000A454: 0ACC0D66
	v_mul_f32_e32 v103, v103, v7                               // 00000000A458: 0ACE0F67
	v_mul_f32_e32 v100, v100, v132                             // 00000000A45C: 0AC90964
	v_mul_f32_e32 v101, v101, v133                             // 00000000A460: 0ACB0B65
	v_mul_f32_e32 v102, v102, v134                             // 00000000A464: 0ACD0D66
	v_mul_f32_e32 v103, v103, v135                             // 00000000A468: 0ACF0F67
	v_pk_mul_f32 v[4:5], v[104:105], v[104:105]                // 00000000A46C: D3B14004 1802D168
	v_pk_mul_f32 v[6:7], v[106:107], v[106:107]                // 00000000A474: D3B14006 1802D56A
	v_pk_fma_f32 v[4:5], v[4:5], s[78:79], v[8:9]              // 00000000A47C: D3B04004 1C209D04
	v_pk_fma_f32 v[6:7], v[6:7], s[78:79], v[8:9]              // 00000000A484: D3B04006 1C209D06
	v_pk_mul_f32 v[4:5], v[4:5], v[104:105]                    // 00000000A48C: D3B14004 1802D104
	v_pk_mul_f32 v[6:7], v[6:7], v[106:107]                    // 00000000A494: D3B14006 1802D506
	v_pk_mul_f32 v[4:5], v[4:5], s[60:61]                      // 00000000A49C: D3B14004 18007904
	v_pk_mul_f32 v[6:7], v[6:7], s[60:61]                      // 00000000A4A4: D3B14006 18007906
	v_exp_f32_e32 v4, v4                                       // 00000000A4AC: 7E084104
	v_exp_f32_e32 v5, v5                                       // 00000000A4B0: 7E0A4105
	v_exp_f32_e32 v6, v6                                       // 00000000A4B4: 7E0C4106
	v_exp_f32_e32 v7, v7                                       // 00000000A4B8: 7E0E4107
	v_add_f32_e64 v4, v4, 1.0                                  // 00000000A4BC: D1010004 0001E504
	v_add_f32_e64 v5, v5, 1.0                                  // 00000000A4C4: D1010005 0001E505
	v_add_f32_e64 v6, v6, 1.0                                  // 00000000A4CC: D1010006 0001E506
	v_add_f32_e64 v7, v7, 1.0                                  // 00000000A4D4: D1010007 0001E507
	v_rcp_f32_e32 v4, v4                                       // 00000000A4DC: 7E084504
	v_rcp_f32_e32 v5, v5                                       // 00000000A4E0: 7E0A4505
	v_rcp_f32_e32 v6, v6                                       // 00000000A4E4: 7E0C4506
	v_rcp_f32_e32 v7, v7                                       // 00000000A4E8: 7E0E4507
	v_mul_f32_e32 v104, v104, v4                               // 00000000A4EC: 0AD00968
	v_mul_f32_e32 v105, v105, v5                               // 00000000A4F0: 0AD20B69
	v_mul_f32_e32 v106, v106, v6                               // 00000000A4F4: 0AD40D6A
	v_mul_f32_e32 v107, v107, v7                               // 00000000A4F8: 0AD60F6B
	v_mul_f32_e32 v104, v104, v136                             // 00000000A4FC: 0AD11168
	v_mul_f32_e32 v105, v105, v137                             // 00000000A500: 0AD31369
	v_mul_f32_e32 v106, v106, v138                             // 00000000A504: 0AD5156A
	v_mul_f32_e32 v107, v107, v139                             // 00000000A508: 0AD7176B
	v_pk_mul_f32 v[4:5], v[108:109], v[108:109]                // 00000000A50C: D3B14004 1802D96C
	v_pk_mul_f32 v[6:7], v[110:111], v[110:111]                // 00000000A514: D3B14006 1802DD6E
	v_pk_fma_f32 v[4:5], v[4:5], s[78:79], v[8:9]              // 00000000A51C: D3B04004 1C209D04
	v_pk_fma_f32 v[6:7], v[6:7], s[78:79], v[8:9]              // 00000000A524: D3B04006 1C209D06
	v_pk_mul_f32 v[4:5], v[4:5], v[108:109]                    // 00000000A52C: D3B14004 1802D904
	v_pk_mul_f32 v[6:7], v[6:7], v[110:111]                    // 00000000A534: D3B14006 1802DD06
	v_pk_mul_f32 v[4:5], v[4:5], s[60:61]                      // 00000000A53C: D3B14004 18007904
	v_pk_mul_f32 v[6:7], v[6:7], s[60:61]                      // 00000000A544: D3B14006 18007906
	v_exp_f32_e32 v4, v4                                       // 00000000A54C: 7E084104
	v_exp_f32_e32 v5, v5                                       // 00000000A550: 7E0A4105
	v_exp_f32_e32 v6, v6                                       // 00000000A554: 7E0C4106
	v_exp_f32_e32 v7, v7                                       // 00000000A558: 7E0E4107
	v_add_f32_e64 v4, v4, 1.0                                  // 00000000A55C: D1010004 0001E504
	v_add_f32_e64 v5, v5, 1.0                                  // 00000000A564: D1010005 0001E505
	v_add_f32_e64 v6, v6, 1.0                                  // 00000000A56C: D1010006 0001E506
	v_add_f32_e64 v7, v7, 1.0                                  // 00000000A574: D1010007 0001E507
	v_rcp_f32_e32 v4, v4                                       // 00000000A57C: 7E084504
	v_rcp_f32_e32 v5, v5                                       // 00000000A580: 7E0A4505
	v_rcp_f32_e32 v6, v6                                       // 00000000A584: 7E0C4506
	v_rcp_f32_e32 v7, v7                                       // 00000000A588: 7E0E4507
	v_mul_f32_e32 v108, v108, v4                               // 00000000A58C: 0AD8096C
	v_mul_f32_e32 v109, v109, v5                               // 00000000A590: 0ADA0B6D
	v_mul_f32_e32 v110, v110, v6                               // 00000000A594: 0ADC0D6E
	v_mul_f32_e32 v111, v111, v7                               // 00000000A598: 0ADE0F6F
	v_mul_f32_e32 v108, v108, v140                             // 00000000A59C: 0AD9196C
	v_mul_f32_e32 v109, v109, v141                             // 00000000A5A0: 0ADB1B6D
	v_mul_f32_e32 v110, v110, v142                             // 00000000A5A4: 0ADD1D6E
	v_mul_f32_e32 v111, v111, v143                             // 00000000A5A8: 0ADF1F6F
	s_branch label_1FEF                                        // 00000000A5AC: BF820100

000000000000a5b0 <label_1EEF>:
	v_mul_f32_e64 v4, -v80, s6                                 // 00000000A5B0: D1050004 20000D50
	v_mul_f32_e64 v5, -v81, s6                                 // 00000000A5B8: D1050005 20000D51
	v_mul_f32_e64 v6, -v82, s6                                 // 00000000A5C0: D1050006 20000D52
	v_mul_f32_e64 v7, -v83, s6                                 // 00000000A5C8: D1050007 20000D53
	v_exp_f32_e32 v4, v4                                       // 00000000A5D0: 7E084104
	v_exp_f32_e32 v5, v5                                       // 00000000A5D4: 7E0A4105
	v_exp_f32_e32 v6, v6                                       // 00000000A5D8: 7E0C4106
	v_exp_f32_e32 v7, v7                                       // 00000000A5DC: 7E0E4107
	v_add_f32_e64 v4, v4, 1.0                                  // 00000000A5E0: D1010004 0001E504
	v_add_f32_e64 v5, v5, 1.0                                  // 00000000A5E8: D1010005 0001E505
	v_add_f32_e64 v6, v6, 1.0                                  // 00000000A5F0: D1010006 0001E506
	v_add_f32_e64 v7, v7, 1.0                                  // 00000000A5F8: D1010007 0001E507
	v_rcp_f32_e32 v4, v4                                       // 00000000A600: 7E084504
	v_rcp_f32_e32 v5, v5                                       // 00000000A604: 7E0A4505
	v_rcp_f32_e32 v6, v6                                       // 00000000A608: 7E0C4506
	v_rcp_f32_e32 v7, v7                                       // 00000000A60C: 7E0E4507
	v_mul_f32_e32 v80, v80, v4                                 // 00000000A610: 0AA00950
	v_mul_f32_e32 v81, v81, v5                                 // 00000000A614: 0AA20B51
	v_mul_f32_e32 v82, v82, v6                                 // 00000000A618: 0AA40D52
	v_mul_f32_e32 v83, v83, v7                                 // 00000000A61C: 0AA60F53
	v_mul_f32_e32 v80, v80, v112                               // 00000000A620: 0AA0E150
	v_mul_f32_e32 v81, v81, v113                               // 00000000A624: 0AA2E351
	v_mul_f32_e32 v82, v82, v114                               // 00000000A628: 0AA4E552
	v_mul_f32_e32 v83, v83, v115                               // 00000000A62C: 0AA6E753
	v_mul_f32_e64 v4, -v84, s6                                 // 00000000A630: D1050004 20000D54
	v_mul_f32_e64 v5, -v85, s6                                 // 00000000A638: D1050005 20000D55
	v_mul_f32_e64 v6, -v86, s6                                 // 00000000A640: D1050006 20000D56
	v_mul_f32_e64 v7, -v87, s6                                 // 00000000A648: D1050007 20000D57
	v_exp_f32_e32 v4, v4                                       // 00000000A650: 7E084104
	v_exp_f32_e32 v5, v5                                       // 00000000A654: 7E0A4105
	v_exp_f32_e32 v6, v6                                       // 00000000A658: 7E0C4106
	v_exp_f32_e32 v7, v7                                       // 00000000A65C: 7E0E4107
	v_add_f32_e64 v4, v4, 1.0                                  // 00000000A660: D1010004 0001E504
	v_add_f32_e64 v5, v5, 1.0                                  // 00000000A668: D1010005 0001E505
	v_add_f32_e64 v6, v6, 1.0                                  // 00000000A670: D1010006 0001E506
	v_add_f32_e64 v7, v7, 1.0                                  // 00000000A678: D1010007 0001E507
	v_rcp_f32_e32 v4, v4                                       // 00000000A680: 7E084504
	v_rcp_f32_e32 v5, v5                                       // 00000000A684: 7E0A4505
	v_rcp_f32_e32 v6, v6                                       // 00000000A688: 7E0C4506
	v_rcp_f32_e32 v7, v7                                       // 00000000A68C: 7E0E4507
	v_mul_f32_e32 v84, v84, v4                                 // 00000000A690: 0AA80954
	v_mul_f32_e32 v85, v85, v5                                 // 00000000A694: 0AAA0B55
	v_mul_f32_e32 v86, v86, v6                                 // 00000000A698: 0AAC0D56
	v_mul_f32_e32 v87, v87, v7                                 // 00000000A69C: 0AAE0F57
	v_mul_f32_e32 v84, v84, v116                               // 00000000A6A0: 0AA8E954
	v_mul_f32_e32 v85, v85, v117                               // 00000000A6A4: 0AAAEB55
	v_mul_f32_e32 v86, v86, v118                               // 00000000A6A8: 0AACED56
	v_mul_f32_e32 v87, v87, v119                               // 00000000A6AC: 0AAEEF57
	v_mul_f32_e64 v4, -v88, s6                                 // 00000000A6B0: D1050004 20000D58
	v_mul_f32_e64 v5, -v89, s6                                 // 00000000A6B8: D1050005 20000D59
	v_mul_f32_e64 v6, -v90, s6                                 // 00000000A6C0: D1050006 20000D5A
	v_mul_f32_e64 v7, -v91, s6                                 // 00000000A6C8: D1050007 20000D5B
	v_exp_f32_e32 v4, v4                                       // 00000000A6D0: 7E084104
	v_exp_f32_e32 v5, v5                                       // 00000000A6D4: 7E0A4105
	v_exp_f32_e32 v6, v6                                       // 00000000A6D8: 7E0C4106
	v_exp_f32_e32 v7, v7                                       // 00000000A6DC: 7E0E4107
	v_add_f32_e64 v4, v4, 1.0                                  // 00000000A6E0: D1010004 0001E504
	v_add_f32_e64 v5, v5, 1.0                                  // 00000000A6E8: D1010005 0001E505
	v_add_f32_e64 v6, v6, 1.0                                  // 00000000A6F0: D1010006 0001E506
	v_add_f32_e64 v7, v7, 1.0                                  // 00000000A6F8: D1010007 0001E507
	v_rcp_f32_e32 v4, v4                                       // 00000000A700: 7E084504
	v_rcp_f32_e32 v5, v5                                       // 00000000A704: 7E0A4505
	v_rcp_f32_e32 v6, v6                                       // 00000000A708: 7E0C4506
	v_rcp_f32_e32 v7, v7                                       // 00000000A70C: 7E0E4507
	v_mul_f32_e32 v88, v88, v4                                 // 00000000A710: 0AB00958
	v_mul_f32_e32 v89, v89, v5                                 // 00000000A714: 0AB20B59
	v_mul_f32_e32 v90, v90, v6                                 // 00000000A718: 0AB40D5A
	v_mul_f32_e32 v91, v91, v7                                 // 00000000A71C: 0AB60F5B
	v_mul_f32_e32 v88, v88, v120                               // 00000000A720: 0AB0F158
	v_mul_f32_e32 v89, v89, v121                               // 00000000A724: 0AB2F359
	v_mul_f32_e32 v90, v90, v122                               // 00000000A728: 0AB4F55A
	v_mul_f32_e32 v91, v91, v123                               // 00000000A72C: 0AB6F75B
	v_mul_f32_e64 v4, -v92, s6                                 // 00000000A730: D1050004 20000D5C
	v_mul_f32_e64 v5, -v93, s6                                 // 00000000A738: D1050005 20000D5D
	v_mul_f32_e64 v6, -v94, s6                                 // 00000000A740: D1050006 20000D5E
	v_mul_f32_e64 v7, -v95, s6                                 // 00000000A748: D1050007 20000D5F
	v_exp_f32_e32 v4, v4                                       // 00000000A750: 7E084104
	v_exp_f32_e32 v5, v5                                       // 00000000A754: 7E0A4105
	v_exp_f32_e32 v6, v6                                       // 00000000A758: 7E0C4106
	v_exp_f32_e32 v7, v7                                       // 00000000A75C: 7E0E4107
	v_add_f32_e64 v4, v4, 1.0                                  // 00000000A760: D1010004 0001E504
	v_add_f32_e64 v5, v5, 1.0                                  // 00000000A768: D1010005 0001E505
	v_add_f32_e64 v6, v6, 1.0                                  // 00000000A770: D1010006 0001E506
	v_add_f32_e64 v7, v7, 1.0                                  // 00000000A778: D1010007 0001E507
	v_rcp_f32_e32 v4, v4                                       // 00000000A780: 7E084504
	v_rcp_f32_e32 v5, v5                                       // 00000000A784: 7E0A4505
	v_rcp_f32_e32 v6, v6                                       // 00000000A788: 7E0C4506
	v_rcp_f32_e32 v7, v7                                       // 00000000A78C: 7E0E4507
	v_mul_f32_e32 v92, v92, v4                                 // 00000000A790: 0AB8095C
	v_mul_f32_e32 v93, v93, v5                                 // 00000000A794: 0ABA0B5D
	v_mul_f32_e32 v94, v94, v6                                 // 00000000A798: 0ABC0D5E
	v_mul_f32_e32 v95, v95, v7                                 // 00000000A79C: 0ABE0F5F
	v_mul_f32_e32 v92, v92, v124                               // 00000000A7A0: 0AB8F95C
	v_mul_f32_e32 v93, v93, v125                               // 00000000A7A4: 0ABAFB5D
	v_mul_f32_e32 v94, v94, v126                               // 00000000A7A8: 0ABCFD5E
	v_mul_f32_e32 v95, v95, v127                               // 00000000A7AC: 0ABEFF5F
	v_mul_f32_e64 v4, -v96, s6                                 // 00000000A7B0: D1050004 20000D60
	v_mul_f32_e64 v5, -v97, s6                                 // 00000000A7B8: D1050005 20000D61
	v_mul_f32_e64 v6, -v98, s6                                 // 00000000A7C0: D1050006 20000D62
	v_mul_f32_e64 v7, -v99, s6                                 // 00000000A7C8: D1050007 20000D63
	v_exp_f32_e32 v4, v4                                       // 00000000A7D0: 7E084104
	v_exp_f32_e32 v5, v5                                       // 00000000A7D4: 7E0A4105
	v_exp_f32_e32 v6, v6                                       // 00000000A7D8: 7E0C4106
	v_exp_f32_e32 v7, v7                                       // 00000000A7DC: 7E0E4107
	v_add_f32_e64 v4, v4, 1.0                                  // 00000000A7E0: D1010004 0001E504
	v_add_f32_e64 v5, v5, 1.0                                  // 00000000A7E8: D1010005 0001E505
	v_add_f32_e64 v6, v6, 1.0                                  // 00000000A7F0: D1010006 0001E506
	v_add_f32_e64 v7, v7, 1.0                                  // 00000000A7F8: D1010007 0001E507
	v_rcp_f32_e32 v4, v4                                       // 00000000A800: 7E084504
	v_rcp_f32_e32 v5, v5                                       // 00000000A804: 7E0A4505
	v_rcp_f32_e32 v6, v6                                       // 00000000A808: 7E0C4506
	v_rcp_f32_e32 v7, v7                                       // 00000000A80C: 7E0E4507
	v_mul_f32_e32 v96, v96, v4                                 // 00000000A810: 0AC00960
	v_mul_f32_e32 v97, v97, v5                                 // 00000000A814: 0AC20B61
	v_mul_f32_e32 v98, v98, v6                                 // 00000000A818: 0AC40D62
	v_mul_f32_e32 v99, v99, v7                                 // 00000000A81C: 0AC60F63
	v_mul_f32_e32 v96, v96, v128                               // 00000000A820: 0AC10160
	v_mul_f32_e32 v97, v97, v129                               // 00000000A824: 0AC30361
	v_mul_f32_e32 v98, v98, v130                               // 00000000A828: 0AC50562
	v_mul_f32_e32 v99, v99, v131                               // 00000000A82C: 0AC70763
	v_mul_f32_e64 v4, -v100, s6                                // 00000000A830: D1050004 20000D64
	v_mul_f32_e64 v5, -v101, s6                                // 00000000A838: D1050005 20000D65
	v_mul_f32_e64 v6, -v102, s6                                // 00000000A840: D1050006 20000D66
	v_mul_f32_e64 v7, -v103, s6                                // 00000000A848: D1050007 20000D67
	v_exp_f32_e32 v4, v4                                       // 00000000A850: 7E084104
	v_exp_f32_e32 v5, v5                                       // 00000000A854: 7E0A4105
	v_exp_f32_e32 v6, v6                                       // 00000000A858: 7E0C4106
	v_exp_f32_e32 v7, v7                                       // 00000000A85C: 7E0E4107
	v_add_f32_e64 v4, v4, 1.0                                  // 00000000A860: D1010004 0001E504
	v_add_f32_e64 v5, v5, 1.0                                  // 00000000A868: D1010005 0001E505
	v_add_f32_e64 v6, v6, 1.0                                  // 00000000A870: D1010006 0001E506
	v_add_f32_e64 v7, v7, 1.0                                  // 00000000A878: D1010007 0001E507
	v_rcp_f32_e32 v4, v4                                       // 00000000A880: 7E084504
	v_rcp_f32_e32 v5, v5                                       // 00000000A884: 7E0A4505
	v_rcp_f32_e32 v6, v6                                       // 00000000A888: 7E0C4506
	v_rcp_f32_e32 v7, v7                                       // 00000000A88C: 7E0E4507
	v_mul_f32_e32 v100, v100, v4                               // 00000000A890: 0AC80964
	v_mul_f32_e32 v101, v101, v5                               // 00000000A894: 0ACA0B65
	v_mul_f32_e32 v102, v102, v6                               // 00000000A898: 0ACC0D66
	v_mul_f32_e32 v103, v103, v7                               // 00000000A89C: 0ACE0F67
	v_mul_f32_e32 v100, v100, v132                             // 00000000A8A0: 0AC90964
	v_mul_f32_e32 v101, v101, v133                             // 00000000A8A4: 0ACB0B65
	v_mul_f32_e32 v102, v102, v134                             // 00000000A8A8: 0ACD0D66
	v_mul_f32_e32 v103, v103, v135                             // 00000000A8AC: 0ACF0F67
	v_mul_f32_e64 v4, -v104, s6                                // 00000000A8B0: D1050004 20000D68
	v_mul_f32_e64 v5, -v105, s6                                // 00000000A8B8: D1050005 20000D69
	v_mul_f32_e64 v6, -v106, s6                                // 00000000A8C0: D1050006 20000D6A
	v_mul_f32_e64 v7, -v107, s6                                // 00000000A8C8: D1050007 20000D6B
	v_exp_f32_e32 v4, v4                                       // 00000000A8D0: 7E084104
	v_exp_f32_e32 v5, v5                                       // 00000000A8D4: 7E0A4105
	v_exp_f32_e32 v6, v6                                       // 00000000A8D8: 7E0C4106
	v_exp_f32_e32 v7, v7                                       // 00000000A8DC: 7E0E4107
	v_add_f32_e64 v4, v4, 1.0                                  // 00000000A8E0: D1010004 0001E504
	v_add_f32_e64 v5, v5, 1.0                                  // 00000000A8E8: D1010005 0001E505
	v_add_f32_e64 v6, v6, 1.0                                  // 00000000A8F0: D1010006 0001E506
	v_add_f32_e64 v7, v7, 1.0                                  // 00000000A8F8: D1010007 0001E507
	v_rcp_f32_e32 v4, v4                                       // 00000000A900: 7E084504
	v_rcp_f32_e32 v5, v5                                       // 00000000A904: 7E0A4505
	v_rcp_f32_e32 v6, v6                                       // 00000000A908: 7E0C4506
	v_rcp_f32_e32 v7, v7                                       // 00000000A90C: 7E0E4507
	v_mul_f32_e32 v104, v104, v4                               // 00000000A910: 0AD00968
	v_mul_f32_e32 v105, v105, v5                               // 00000000A914: 0AD20B69
	v_mul_f32_e32 v106, v106, v6                               // 00000000A918: 0AD40D6A
	v_mul_f32_e32 v107, v107, v7                               // 00000000A91C: 0AD60F6B
	v_mul_f32_e32 v104, v104, v136                             // 00000000A920: 0AD11168
	v_mul_f32_e32 v105, v105, v137                             // 00000000A924: 0AD31369
	v_mul_f32_e32 v106, v106, v138                             // 00000000A928: 0AD5156A
	v_mul_f32_e32 v107, v107, v139                             // 00000000A92C: 0AD7176B
	v_mul_f32_e64 v4, -v108, s6                                // 00000000A930: D1050004 20000D6C
	v_mul_f32_e64 v5, -v109, s6                                // 00000000A938: D1050005 20000D6D
	v_mul_f32_e64 v6, -v110, s6                                // 00000000A940: D1050006 20000D6E
	v_mul_f32_e64 v7, -v111, s6                                // 00000000A948: D1050007 20000D6F
	v_exp_f32_e32 v4, v4                                       // 00000000A950: 7E084104
	v_exp_f32_e32 v5, v5                                       // 00000000A954: 7E0A4105
	v_exp_f32_e32 v6, v6                                       // 00000000A958: 7E0C4106
	v_exp_f32_e32 v7, v7                                       // 00000000A95C: 7E0E4107
	v_add_f32_e64 v4, v4, 1.0                                  // 00000000A960: D1010004 0001E504
	v_add_f32_e64 v5, v5, 1.0                                  // 00000000A968: D1010005 0001E505
	v_add_f32_e64 v6, v6, 1.0                                  // 00000000A970: D1010006 0001E506
	v_add_f32_e64 v7, v7, 1.0                                  // 00000000A978: D1010007 0001E507
	v_rcp_f32_e32 v4, v4                                       // 00000000A980: 7E084504
	v_rcp_f32_e32 v5, v5                                       // 00000000A984: 7E0A4505
	v_rcp_f32_e32 v6, v6                                       // 00000000A988: 7E0C4506
	v_rcp_f32_e32 v7, v7                                       // 00000000A98C: 7E0E4507
	v_mul_f32_e32 v108, v108, v4                               // 00000000A990: 0AD8096C
	v_mul_f32_e32 v109, v109, v5                               // 00000000A994: 0ADA0B6D
	v_mul_f32_e32 v110, v110, v6                               // 00000000A998: 0ADC0D6E
	v_mul_f32_e32 v111, v111, v7                               // 00000000A99C: 0ADE0F6F
	v_mul_f32_e32 v108, v108, v140                             // 00000000A9A0: 0AD9196C
	v_mul_f32_e32 v109, v109, v141                             // 00000000A9A4: 0ADB1B6D
	v_mul_f32_e32 v110, v110, v142                             // 00000000A9A8: 0ADD1D6E
	v_mul_f32_e32 v111, v111, v143                             // 00000000A9AC: 0ADF1F6F

000000000000a9b0 <label_1FEF>:
	v_cmp_u_f32_e64 s[46:47], v80, v80                         // 00000000A9B0: D048002E 0002A150
	v_add3_u32 v16, v80, v19, 1                                // 00000000A9B8: D1FF0010 02062750
	v_cndmask_b32_e64 v4, v16, v18, s[46:47]                   // 00000000A9C0: D1000004 00BA2510
	v_cmp_u_f32_e64 s[46:47], v81, v81                         // 00000000A9C8: D048002E 0002A351
	v_add3_u32 v16, v81, v19, 1                                // 00000000A9D0: D1FF0010 02062751
	v_cndmask_b32_e64 v5, v16, v18, s[46:47]                   // 00000000A9D8: D1000005 00BA2510
	v_perm_b32 v80, v5, v4, s52                                // 00000000A9E0: D1ED0050 00D20905
	v_cmp_u_f32_e64 s[46:47], v82, v82                         // 00000000A9E8: D048002E 0002A552
	v_add3_u32 v16, v82, v19, 1                                // 00000000A9F0: D1FF0010 02062752
	v_cndmask_b32_e64 v4, v16, v18, s[46:47]                   // 00000000A9F8: D1000004 00BA2510
	v_cmp_u_f32_e64 s[46:47], v83, v83                         // 00000000AA00: D048002E 0002A753
	v_add3_u32 v16, v83, v19, 1                                // 00000000AA08: D1FF0010 02062753
	v_cndmask_b32_e64 v5, v16, v18, s[46:47]                   // 00000000AA10: D1000005 00BA2510
	v_perm_b32 v81, v5, v4, s52                                // 00000000AA18: D1ED0051 00D20905
	v_cmp_u_f32_e64 s[46:47], v84, v84                         // 00000000AA20: D048002E 0002A954
	v_add3_u32 v16, v84, v19, 1                                // 00000000AA28: D1FF0010 02062754
	v_cndmask_b32_e64 v4, v16, v18, s[46:47]                   // 00000000AA30: D1000004 00BA2510
	v_cmp_u_f32_e64 s[46:47], v85, v85                         // 00000000AA38: D048002E 0002AB55
	v_add3_u32 v16, v85, v19, 1                                // 00000000AA40: D1FF0010 02062755
	v_cndmask_b32_e64 v5, v16, v18, s[46:47]                   // 00000000AA48: D1000005 00BA2510
	v_perm_b32 v82, v5, v4, s52                                // 00000000AA50: D1ED0052 00D20905
	v_cmp_u_f32_e64 s[46:47], v86, v86                         // 00000000AA58: D048002E 0002AD56
	v_add3_u32 v16, v86, v19, 1                                // 00000000AA60: D1FF0010 02062756
	v_cndmask_b32_e64 v4, v16, v18, s[46:47]                   // 00000000AA68: D1000004 00BA2510
	v_cmp_u_f32_e64 s[46:47], v87, v87                         // 00000000AA70: D048002E 0002AF57
	v_add3_u32 v16, v87, v19, 1                                // 00000000AA78: D1FF0010 02062757
	v_cndmask_b32_e64 v5, v16, v18, s[46:47]                   // 00000000AA80: D1000005 00BA2510
	v_perm_b32 v83, v5, v4, s52                                // 00000000AA88: D1ED0053 00D20905
	v_cmp_u_f32_e64 s[46:47], v88, v88                         // 00000000AA90: D048002E 0002B158
	v_add3_u32 v16, v88, v19, 1                                // 00000000AA98: D1FF0010 02062758
	v_cndmask_b32_e64 v4, v16, v18, s[46:47]                   // 00000000AAA0: D1000004 00BA2510
	v_cmp_u_f32_e64 s[46:47], v89, v89                         // 00000000AAA8: D048002E 0002B359
	v_add3_u32 v16, v89, v19, 1                                // 00000000AAB0: D1FF0010 02062759
	v_cndmask_b32_e64 v5, v16, v18, s[46:47]                   // 00000000AAB8: D1000005 00BA2510
	v_perm_b32 v84, v5, v4, s52                                // 00000000AAC0: D1ED0054 00D20905
	v_cmp_u_f32_e64 s[46:47], v90, v90                         // 00000000AAC8: D048002E 0002B55A
	v_add3_u32 v16, v90, v19, 1                                // 00000000AAD0: D1FF0010 0206275A
	v_cndmask_b32_e64 v4, v16, v18, s[46:47]                   // 00000000AAD8: D1000004 00BA2510
	v_cmp_u_f32_e64 s[46:47], v91, v91                         // 00000000AAE0: D048002E 0002B75B
	v_add3_u32 v16, v91, v19, 1                                // 00000000AAE8: D1FF0010 0206275B
	v_cndmask_b32_e64 v5, v16, v18, s[46:47]                   // 00000000AAF0: D1000005 00BA2510
	v_perm_b32 v85, v5, v4, s52                                // 00000000AAF8: D1ED0055 00D20905
	v_cmp_u_f32_e64 s[46:47], v92, v92                         // 00000000AB00: D048002E 0002B95C
	v_add3_u32 v16, v92, v19, 1                                // 00000000AB08: D1FF0010 0206275C
	v_cndmask_b32_e64 v4, v16, v18, s[46:47]                   // 00000000AB10: D1000004 00BA2510
	v_cmp_u_f32_e64 s[46:47], v93, v93                         // 00000000AB18: D048002E 0002BB5D
	v_add3_u32 v16, v93, v19, 1                                // 00000000AB20: D1FF0010 0206275D
	v_cndmask_b32_e64 v5, v16, v18, s[46:47]                   // 00000000AB28: D1000005 00BA2510
	v_perm_b32 v86, v5, v4, s52                                // 00000000AB30: D1ED0056 00D20905
	v_cmp_u_f32_e64 s[46:47], v94, v94                         // 00000000AB38: D048002E 0002BD5E
	v_add3_u32 v16, v94, v19, 1                                // 00000000AB40: D1FF0010 0206275E
	v_cndmask_b32_e64 v4, v16, v18, s[46:47]                   // 00000000AB48: D1000004 00BA2510
	v_cmp_u_f32_e64 s[46:47], v95, v95                         // 00000000AB50: D048002E 0002BF5F
	v_add3_u32 v16, v95, v19, 1                                // 00000000AB58: D1FF0010 0206275F
	v_cndmask_b32_e64 v5, v16, v18, s[46:47]                   // 00000000AB60: D1000005 00BA2510
	v_perm_b32 v87, v5, v4, s52                                // 00000000AB68: D1ED0057 00D20905
	v_cmp_u_f32_e64 s[46:47], v96, v96                         // 00000000AB70: D048002E 0002C160
	v_add3_u32 v16, v96, v19, 1                                // 00000000AB78: D1FF0010 02062760
	v_cndmask_b32_e64 v4, v16, v18, s[46:47]                   // 00000000AB80: D1000004 00BA2510
	v_cmp_u_f32_e64 s[46:47], v97, v97                         // 00000000AB88: D048002E 0002C361
	v_add3_u32 v16, v97, v19, 1                                // 00000000AB90: D1FF0010 02062761
	v_cndmask_b32_e64 v5, v16, v18, s[46:47]                   // 00000000AB98: D1000005 00BA2510
	v_perm_b32 v88, v5, v4, s52                                // 00000000ABA0: D1ED0058 00D20905
	v_cmp_u_f32_e64 s[46:47], v98, v98                         // 00000000ABA8: D048002E 0002C562
	v_add3_u32 v16, v98, v19, 1                                // 00000000ABB0: D1FF0010 02062762
	v_cndmask_b32_e64 v4, v16, v18, s[46:47]                   // 00000000ABB8: D1000004 00BA2510
	v_cmp_u_f32_e64 s[46:47], v99, v99                         // 00000000ABC0: D048002E 0002C763
	v_add3_u32 v16, v99, v19, 1                                // 00000000ABC8: D1FF0010 02062763
	v_cndmask_b32_e64 v5, v16, v18, s[46:47]                   // 00000000ABD0: D1000005 00BA2510
	v_perm_b32 v89, v5, v4, s52                                // 00000000ABD8: D1ED0059 00D20905
	v_cmp_u_f32_e64 s[46:47], v100, v100                       // 00000000ABE0: D048002E 0002C964
	v_add3_u32 v16, v100, v19, 1                               // 00000000ABE8: D1FF0010 02062764
	v_cndmask_b32_e64 v4, v16, v18, s[46:47]                   // 00000000ABF0: D1000004 00BA2510
	v_cmp_u_f32_e64 s[46:47], v101, v101                       // 00000000ABF8: D048002E 0002CB65
	v_add3_u32 v16, v101, v19, 1                               // 00000000AC00: D1FF0010 02062765
	v_cndmask_b32_e64 v5, v16, v18, s[46:47]                   // 00000000AC08: D1000005 00BA2510
	v_perm_b32 v90, v5, v4, s52                                // 00000000AC10: D1ED005A 00D20905
	v_cmp_u_f32_e64 s[46:47], v102, v102                       // 00000000AC18: D048002E 0002CD66
	v_add3_u32 v16, v102, v19, 1                               // 00000000AC20: D1FF0010 02062766
	v_cndmask_b32_e64 v4, v16, v18, s[46:47]                   // 00000000AC28: D1000004 00BA2510
	v_cmp_u_f32_e64 s[46:47], v103, v103                       // 00000000AC30: D048002E 0002CF67
	v_add3_u32 v16, v103, v19, 1                               // 00000000AC38: D1FF0010 02062767
	v_cndmask_b32_e64 v5, v16, v18, s[46:47]                   // 00000000AC40: D1000005 00BA2510
	v_perm_b32 v91, v5, v4, s52                                // 00000000AC48: D1ED005B 00D20905
	v_cmp_u_f32_e64 s[46:47], v104, v104                       // 00000000AC50: D048002E 0002D168
	v_add3_u32 v16, v104, v19, 1                               // 00000000AC58: D1FF0010 02062768
	v_cndmask_b32_e64 v4, v16, v18, s[46:47]                   // 00000000AC60: D1000004 00BA2510
	v_cmp_u_f32_e64 s[46:47], v105, v105                       // 00000000AC68: D048002E 0002D369
	v_add3_u32 v16, v105, v19, 1                               // 00000000AC70: D1FF0010 02062769
	v_cndmask_b32_e64 v5, v16, v18, s[46:47]                   // 00000000AC78: D1000005 00BA2510
	v_perm_b32 v92, v5, v4, s52                                // 00000000AC80: D1ED005C 00D20905
	v_cmp_u_f32_e64 s[46:47], v106, v106                       // 00000000AC88: D048002E 0002D56A
	v_add3_u32 v16, v106, v19, 1                               // 00000000AC90: D1FF0010 0206276A
	v_cndmask_b32_e64 v4, v16, v18, s[46:47]                   // 00000000AC98: D1000004 00BA2510
	v_cmp_u_f32_e64 s[46:47], v107, v107                       // 00000000ACA0: D048002E 0002D76B
	v_add3_u32 v16, v107, v19, 1                               // 00000000ACA8: D1FF0010 0206276B
	v_cndmask_b32_e64 v5, v16, v18, s[46:47]                   // 00000000ACB0: D1000005 00BA2510
	v_perm_b32 v93, v5, v4, s52                                // 00000000ACB8: D1ED005D 00D20905
	v_cmp_u_f32_e64 s[46:47], v108, v108                       // 00000000ACC0: D048002E 0002D96C
	v_add3_u32 v16, v108, v19, 1                               // 00000000ACC8: D1FF0010 0206276C
	v_cndmask_b32_e64 v4, v16, v18, s[46:47]                   // 00000000ACD0: D1000004 00BA2510
	v_cmp_u_f32_e64 s[46:47], v109, v109                       // 00000000ACD8: D048002E 0002DB6D
	v_add3_u32 v16, v109, v19, 1                               // 00000000ACE0: D1FF0010 0206276D
	v_cndmask_b32_e64 v5, v16, v18, s[46:47]                   // 00000000ACE8: D1000005 00BA2510
	v_perm_b32 v94, v5, v4, s52                                // 00000000ACF0: D1ED005E 00D20905
	v_cmp_u_f32_e64 s[46:47], v110, v110                       // 00000000ACF8: D048002E 0002DD6E
	v_add3_u32 v16, v110, v19, 1                               // 00000000AD00: D1FF0010 0206276E
	v_cndmask_b32_e64 v4, v16, v18, s[46:47]                   // 00000000AD08: D1000004 00BA2510
	v_cmp_u_f32_e64 s[46:47], v111, v111                       // 00000000AD10: D048002E 0002DF6F
	v_add3_u32 v16, v111, v19, 1                               // 00000000AD18: D1FF0010 0206276F
	v_cndmask_b32_e64 v5, v16, v18, s[46:47]                   // 00000000AD20: D1000005 00BA2510
	v_perm_b32 v95, v5, v4, s52                                // 00000000AD28: D1ED005F 00D20905
	ds_write_b64 v20, v[80:81]                                 // 00000000AD30: D89A0000 00005014
	ds_write_b64 v20, v[82:83] offset:2176                     // 00000000AD38: D89A0880 00005214
	ds_write_b64 v20, v[84:85] offset:4352                     // 00000000AD40: D89A1100 00005414
	ds_write_b64 v20, v[86:87] offset:6528                     // 00000000AD48: D89A1980 00005614
	ds_write_b64 v20, v[88:89] offset:8704                     // 00000000AD50: D89A2200 00005814
	ds_write_b64 v20, v[90:91] offset:10880                    // 00000000AD58: D89A2A80 00005A14
	ds_write_b64 v20, v[92:93] offset:13056                    // 00000000AD60: D89A3300 00005C14
	ds_write_b64 v20, v[94:95] offset:15232                    // 00000000AD68: D89A3B80 00005E14
	v_lshrrev_b32_e32 v4, 5, v0                                // 00000000AD70: 20080085
	v_xor_b32_e32 v5, 1, v4                                    // 00000000AD74: 2A0A0881
	s_mul_i32 s60, s65, 2                                      // 00000000AD78: 923C8241
	s_cmp_eq_u32 s88, 0                                        // 00000000AD7C: BF068058
	s_cselect_b32 s61, 1, 4                                    // 00000000AD80: 853D8481
	s_mul_i32 s60, s61, s60                                    // 00000000AD84: 923C3C3D
	v_readlane_b32 s82, v3, 0                                  // 00000000AD88: D2890052 00010103
	s_lshr_b32 s61, s82, 24                                    // 00000000AD90: 8F3D9852
	s_and_b32 s82, s82, 0xffffff                               // 00000000AD94: 8652FF52 00FFFFFF
	s_mul_i32 s82, s82, s71                                    // 00000000AD9C: 92524752
	s_mul_i32 s61, s60, s61                                    // 00000000ADA0: 923D3D3C
	s_add_u32 s82, s82, s61                                    // 00000000ADA4: 80523D52
	v_mul_lo_u32 v6, v5, s82                                   // 00000000ADA8: D2850006 0000A505
	v_readlane_b32 s82, v3, 1                                  // 00000000ADB0: D2890052 00010303
	s_lshr_b32 s61, s82, 24                                    // 00000000ADB8: 8F3D9852
	s_and_b32 s82, s82, 0xffffff                               // 00000000ADBC: 8652FF52 00FFFFFF
	s_mul_i32 s82, s82, s71                                    // 00000000ADC4: 92524752
	s_mul_i32 s61, s60, s61                                    // 00000000ADC8: 923D3D3C
	s_add_u32 s82, s82, s61                                    // 00000000ADCC: 80523D52
	v_mul_lo_u32 v7, v4, s82                                   // 00000000ADD0: D2850007 0000A504
	v_add_u32_e32 v62, v6, v7                                  // 00000000ADD8: 687C0F06
	v_readlane_b32 s82, v3, 2                                  // 00000000ADDC: D2890052 00010503
	s_lshr_b32 s61, s82, 24                                    // 00000000ADE4: 8F3D9852
	s_and_b32 s82, s82, 0xffffff                               // 00000000ADE8: 8652FF52 00FFFFFF
	s_mul_i32 s82, s82, s71                                    // 00000000ADF0: 92524752
	s_mul_i32 s61, s60, s61                                    // 00000000ADF4: 923D3D3C
	s_add_u32 s82, s82, s61                                    // 00000000ADF8: 80523D52
	v_mul_lo_u32 v6, v5, s82                                   // 00000000ADFC: D2850006 0000A505
	v_readlane_b32 s82, v3, 3                                  // 00000000AE04: D2890052 00010703
	s_lshr_b32 s61, s82, 24                                    // 00000000AE0C: 8F3D9852
	s_and_b32 s82, s82, 0xffffff                               // 00000000AE10: 8652FF52 00FFFFFF
	s_mul_i32 s82, s82, s71                                    // 00000000AE18: 92524752
	s_mul_i32 s61, s60, s61                                    // 00000000AE1C: 923D3D3C
	s_add_u32 s82, s82, s61                                    // 00000000AE20: 80523D52
	v_mul_lo_u32 v7, v4, s82                                   // 00000000AE24: D2850007 0000A504
	v_add_u32_e32 v63, v6, v7                                  // 00000000AE2C: 687E0F06
	v_readlane_b32 s82, v3, 4                                  // 00000000AE30: D2890052 00010903
	s_lshr_b32 s61, s82, 24                                    // 00000000AE38: 8F3D9852
	s_and_b32 s82, s82, 0xffffff                               // 00000000AE3C: 8652FF52 00FFFFFF
	s_mul_i32 s82, s82, s71                                    // 00000000AE44: 92524752
	s_mul_i32 s61, s60, s61                                    // 00000000AE48: 923D3D3C
	s_add_u32 s82, s82, s61                                    // 00000000AE4C: 80523D52
	v_mul_lo_u32 v6, v5, s82                                   // 00000000AE50: D2850006 0000A505
	v_readlane_b32 s82, v3, 5                                  // 00000000AE58: D2890052 00010B03
	s_lshr_b32 s61, s82, 24                                    // 00000000AE60: 8F3D9852
	s_and_b32 s82, s82, 0xffffff                               // 00000000AE64: 8652FF52 00FFFFFF
	s_mul_i32 s82, s82, s71                                    // 00000000AE6C: 92524752
	s_mul_i32 s61, s60, s61                                    // 00000000AE70: 923D3D3C
	s_add_u32 s82, s82, s61                                    // 00000000AE74: 80523D52
	v_mul_lo_u32 v7, v4, s82                                   // 00000000AE78: D2850007 0000A504
	v_add_u32_e32 v64, v6, v7                                  // 00000000AE80: 68800F06
	v_readlane_b32 s82, v3, 6                                  // 00000000AE84: D2890052 00010D03
	s_lshr_b32 s61, s82, 24                                    // 00000000AE8C: 8F3D9852
	s_and_b32 s82, s82, 0xffffff                               // 00000000AE90: 8652FF52 00FFFFFF
	s_mul_i32 s82, s82, s71                                    // 00000000AE98: 92524752
	s_mul_i32 s61, s60, s61                                    // 00000000AE9C: 923D3D3C
	s_add_u32 s82, s82, s61                                    // 00000000AEA0: 80523D52
	v_mul_lo_u32 v6, v5, s82                                   // 00000000AEA4: D2850006 0000A505
	v_readlane_b32 s82, v3, 7                                  // 00000000AEAC: D2890052 00010F03
	s_lshr_b32 s61, s82, 24                                    // 00000000AEB4: 8F3D9852
	s_and_b32 s82, s82, 0xffffff                               // 00000000AEB8: 8652FF52 00FFFFFF
	s_mul_i32 s82, s82, s71                                    // 00000000AEC0: 92524752
	s_mul_i32 s61, s60, s61                                    // 00000000AEC4: 923D3D3C
	s_add_u32 s82, s82, s61                                    // 00000000AEC8: 80523D52
	v_mul_lo_u32 v7, v4, s82                                   // 00000000AECC: D2850007 0000A504
	v_add_u32_e32 v65, v6, v7                                  // 00000000AED4: 68820F06
	v_readlane_b32 s82, v3, 8                                  // 00000000AED8: D2890052 00011103
	s_lshr_b32 s61, s82, 24                                    // 00000000AEE0: 8F3D9852
	s_and_b32 s82, s82, 0xffffff                               // 00000000AEE4: 8652FF52 00FFFFFF
	s_mul_i32 s82, s82, s71                                    // 00000000AEEC: 92524752
	s_mul_i32 s61, s60, s61                                    // 00000000AEF0: 923D3D3C
	s_add_u32 s82, s82, s61                                    // 00000000AEF4: 80523D52
	v_mul_lo_u32 v6, v5, s82                                   // 00000000AEF8: D2850006 0000A505
	v_readlane_b32 s82, v3, 9                                  // 00000000AF00: D2890052 00011303
	s_lshr_b32 s61, s82, 24                                    // 00000000AF08: 8F3D9852
	s_and_b32 s82, s82, 0xffffff                               // 00000000AF0C: 8652FF52 00FFFFFF
	s_mul_i32 s82, s82, s71                                    // 00000000AF14: 92524752
	s_mul_i32 s61, s60, s61                                    // 00000000AF18: 923D3D3C
	s_add_u32 s82, s82, s61                                    // 00000000AF1C: 80523D52
	v_mul_lo_u32 v7, v4, s82                                   // 00000000AF20: D2850007 0000A504
	v_add_u32_e32 v66, v6, v7                                  // 00000000AF28: 68840F06
	v_readlane_b32 s82, v3, 10                                 // 00000000AF2C: D2890052 00011503
	s_lshr_b32 s61, s82, 24                                    // 00000000AF34: 8F3D9852
	s_and_b32 s82, s82, 0xffffff                               // 00000000AF38: 8652FF52 00FFFFFF
	s_mul_i32 s82, s82, s71                                    // 00000000AF40: 92524752
	s_mul_i32 s61, s60, s61                                    // 00000000AF44: 923D3D3C
	s_add_u32 s82, s82, s61                                    // 00000000AF48: 80523D52
	v_mul_lo_u32 v6, v5, s82                                   // 00000000AF4C: D2850006 0000A505
	v_readlane_b32 s82, v3, 11                                 // 00000000AF54: D2890052 00011703
	s_lshr_b32 s61, s82, 24                                    // 00000000AF5C: 8F3D9852
	s_and_b32 s82, s82, 0xffffff                               // 00000000AF60: 8652FF52 00FFFFFF
	s_mul_i32 s82, s82, s71                                    // 00000000AF68: 92524752
	s_mul_i32 s61, s60, s61                                    // 00000000AF6C: 923D3D3C
	s_add_u32 s82, s82, s61                                    // 00000000AF70: 80523D52
	v_mul_lo_u32 v7, v4, s82                                   // 00000000AF74: D2850007 0000A504
	v_add_u32_e32 v67, v6, v7                                  // 00000000AF7C: 68860F06
	v_readlane_b32 s82, v3, 12                                 // 00000000AF80: D2890052 00011903
	s_lshr_b32 s61, s82, 24                                    // 00000000AF88: 8F3D9852
	s_and_b32 s82, s82, 0xffffff                               // 00000000AF8C: 8652FF52 00FFFFFF
	s_mul_i32 s82, s82, s71                                    // 00000000AF94: 92524752
	s_mul_i32 s61, s60, s61                                    // 00000000AF98: 923D3D3C
	s_add_u32 s82, s82, s61                                    // 00000000AF9C: 80523D52
	v_mul_lo_u32 v6, v5, s82                                   // 00000000AFA0: D2850006 0000A505
	v_readlane_b32 s82, v3, 13                                 // 00000000AFA8: D2890052 00011B03
	s_lshr_b32 s61, s82, 24                                    // 00000000AFB0: 8F3D9852
	s_and_b32 s82, s82, 0xffffff                               // 00000000AFB4: 8652FF52 00FFFFFF
	s_mul_i32 s82, s82, s71                                    // 00000000AFBC: 92524752
	s_mul_i32 s61, s60, s61                                    // 00000000AFC0: 923D3D3C
	s_add_u32 s82, s82, s61                                    // 00000000AFC4: 80523D52
	v_mul_lo_u32 v7, v4, s82                                   // 00000000AFC8: D2850007 0000A504
	v_add_u32_e32 v68, v6, v7                                  // 00000000AFD0: 68880F06
	v_readlane_b32 s82, v3, 14                                 // 00000000AFD4: D2890052 00011D03
	s_lshr_b32 s61, s82, 24                                    // 00000000AFDC: 8F3D9852
	s_and_b32 s82, s82, 0xffffff                               // 00000000AFE0: 8652FF52 00FFFFFF
	s_mul_i32 s82, s82, s71                                    // 00000000AFE8: 92524752
	s_mul_i32 s61, s60, s61                                    // 00000000AFEC: 923D3D3C
	s_add_u32 s82, s82, s61                                    // 00000000AFF0: 80523D52
	v_mul_lo_u32 v6, v5, s82                                   // 00000000AFF4: D2850006 0000A505
	v_readlane_b32 s82, v3, 15                                 // 00000000AFFC: D2890052 00011F03
	s_lshr_b32 s61, s82, 24                                    // 00000000B004: 8F3D9852
	s_and_b32 s82, s82, 0xffffff                               // 00000000B008: 8652FF52 00FFFFFF
	s_mul_i32 s82, s82, s71                                    // 00000000B010: 92524752
	s_mul_i32 s61, s60, s61                                    // 00000000B014: 923D3D3C
	s_add_u32 s82, s82, s61                                    // 00000000B018: 80523D52
	v_mul_lo_u32 v7, v4, s82                                   // 00000000B01C: D2850007 0000A504
	v_add_u32_e32 v69, v6, v7                                  // 00000000B024: 688A0F06
	v_readlane_b32 s82, v3, 16                                 // 00000000B028: D2890052 00012103
	s_lshr_b32 s61, s82, 24                                    // 00000000B030: 8F3D9852
	s_and_b32 s82, s82, 0xffffff                               // 00000000B034: 8652FF52 00FFFFFF
	s_mul_i32 s82, s82, s71                                    // 00000000B03C: 92524752
	s_mul_i32 s61, s60, s61                                    // 00000000B040: 923D3D3C
	s_add_u32 s82, s82, s61                                    // 00000000B044: 80523D52
	v_mul_lo_u32 v6, v5, s82                                   // 00000000B048: D2850006 0000A505
	v_readlane_b32 s82, v3, 17                                 // 00000000B050: D2890052 00012303
	s_lshr_b32 s61, s82, 24                                    // 00000000B058: 8F3D9852
	s_and_b32 s82, s82, 0xffffff                               // 00000000B05C: 8652FF52 00FFFFFF
	s_mul_i32 s82, s82, s71                                    // 00000000B064: 92524752
	s_mul_i32 s61, s60, s61                                    // 00000000B068: 923D3D3C
	s_add_u32 s82, s82, s61                                    // 00000000B06C: 80523D52
	v_mul_lo_u32 v7, v4, s82                                   // 00000000B070: D2850007 0000A504
	v_add_u32_e32 v70, v6, v7                                  // 00000000B078: 688C0F06
	v_readlane_b32 s82, v3, 18                                 // 00000000B07C: D2890052 00012503
	s_lshr_b32 s61, s82, 24                                    // 00000000B084: 8F3D9852
	s_and_b32 s82, s82, 0xffffff                               // 00000000B088: 8652FF52 00FFFFFF
	s_mul_i32 s82, s82, s71                                    // 00000000B090: 92524752
	s_mul_i32 s61, s60, s61                                    // 00000000B094: 923D3D3C
	s_add_u32 s82, s82, s61                                    // 00000000B098: 80523D52
	v_mul_lo_u32 v6, v5, s82                                   // 00000000B09C: D2850006 0000A505
	v_readlane_b32 s82, v3, 19                                 // 00000000B0A4: D2890052 00012703
	s_lshr_b32 s61, s82, 24                                    // 00000000B0AC: 8F3D9852
	s_and_b32 s82, s82, 0xffffff                               // 00000000B0B0: 8652FF52 00FFFFFF
	s_mul_i32 s82, s82, s71                                    // 00000000B0B8: 92524752
	s_mul_i32 s61, s60, s61                                    // 00000000B0BC: 923D3D3C
	s_add_u32 s82, s82, s61                                    // 00000000B0C0: 80523D52
	v_mul_lo_u32 v7, v4, s82                                   // 00000000B0C4: D2850007 0000A504
	v_add_u32_e32 v71, v6, v7                                  // 00000000B0CC: 688E0F06
	v_readlane_b32 s82, v3, 20                                 // 00000000B0D0: D2890052 00012903
	s_lshr_b32 s61, s82, 24                                    // 00000000B0D8: 8F3D9852
	s_and_b32 s82, s82, 0xffffff                               // 00000000B0DC: 8652FF52 00FFFFFF
	s_mul_i32 s82, s82, s71                                    // 00000000B0E4: 92524752
	s_mul_i32 s61, s60, s61                                    // 00000000B0E8: 923D3D3C
	s_add_u32 s82, s82, s61                                    // 00000000B0EC: 80523D52
	v_mul_lo_u32 v6, v5, s82                                   // 00000000B0F0: D2850006 0000A505
	v_readlane_b32 s82, v3, 21                                 // 00000000B0F8: D2890052 00012B03
	s_lshr_b32 s61, s82, 24                                    // 00000000B100: 8F3D9852
	s_and_b32 s82, s82, 0xffffff                               // 00000000B104: 8652FF52 00FFFFFF
	s_mul_i32 s82, s82, s71                                    // 00000000B10C: 92524752
	s_mul_i32 s61, s60, s61                                    // 00000000B110: 923D3D3C
	s_add_u32 s82, s82, s61                                    // 00000000B114: 80523D52
	v_mul_lo_u32 v7, v4, s82                                   // 00000000B118: D2850007 0000A504
	v_add_u32_e32 v72, v6, v7                                  // 00000000B120: 68900F06
	v_readlane_b32 s82, v3, 22                                 // 00000000B124: D2890052 00012D03
	s_lshr_b32 s61, s82, 24                                    // 00000000B12C: 8F3D9852
	s_and_b32 s82, s82, 0xffffff                               // 00000000B130: 8652FF52 00FFFFFF
	s_mul_i32 s82, s82, s71                                    // 00000000B138: 92524752
	s_mul_i32 s61, s60, s61                                    // 00000000B13C: 923D3D3C
	s_add_u32 s82, s82, s61                                    // 00000000B140: 80523D52
	v_mul_lo_u32 v6, v5, s82                                   // 00000000B144: D2850006 0000A505
	v_readlane_b32 s82, v3, 23                                 // 00000000B14C: D2890052 00012F03
	s_lshr_b32 s61, s82, 24                                    // 00000000B154: 8F3D9852
	s_and_b32 s82, s82, 0xffffff                               // 00000000B158: 8652FF52 00FFFFFF
	s_mul_i32 s82, s82, s71                                    // 00000000B160: 92524752
	s_mul_i32 s61, s60, s61                                    // 00000000B164: 923D3D3C
	s_add_u32 s82, s82, s61                                    // 00000000B168: 80523D52
	v_mul_lo_u32 v7, v4, s82                                   // 00000000B16C: D2850007 0000A504
	v_add_u32_e32 v73, v6, v7                                  // 00000000B174: 68920F06
	v_readlane_b32 s82, v3, 24                                 // 00000000B178: D2890052 00013103
	s_lshr_b32 s61, s82, 24                                    // 00000000B180: 8F3D9852
	s_and_b32 s82, s82, 0xffffff                               // 00000000B184: 8652FF52 00FFFFFF
	s_mul_i32 s82, s82, s71                                    // 00000000B18C: 92524752
	s_mul_i32 s61, s60, s61                                    // 00000000B190: 923D3D3C
	s_add_u32 s82, s82, s61                                    // 00000000B194: 80523D52
	v_mul_lo_u32 v6, v5, s82                                   // 00000000B198: D2850006 0000A505
	v_readlane_b32 s82, v3, 25                                 // 00000000B1A0: D2890052 00013303
	s_lshr_b32 s61, s82, 24                                    // 00000000B1A8: 8F3D9852
	s_and_b32 s82, s82, 0xffffff                               // 00000000B1AC: 8652FF52 00FFFFFF
	s_mul_i32 s82, s82, s71                                    // 00000000B1B4: 92524752
	s_mul_i32 s61, s60, s61                                    // 00000000B1B8: 923D3D3C
	s_add_u32 s82, s82, s61                                    // 00000000B1BC: 80523D52
	v_mul_lo_u32 v7, v4, s82                                   // 00000000B1C0: D2850007 0000A504
	v_add_u32_e32 v74, v6, v7                                  // 00000000B1C8: 68940F06
	v_readlane_b32 s82, v3, 26                                 // 00000000B1CC: D2890052 00013503
	s_lshr_b32 s61, s82, 24                                    // 00000000B1D4: 8F3D9852
	s_and_b32 s82, s82, 0xffffff                               // 00000000B1D8: 8652FF52 00FFFFFF
	s_mul_i32 s82, s82, s71                                    // 00000000B1E0: 92524752
	s_mul_i32 s61, s60, s61                                    // 00000000B1E4: 923D3D3C
	s_add_u32 s82, s82, s61                                    // 00000000B1E8: 80523D52
	v_mul_lo_u32 v6, v5, s82                                   // 00000000B1EC: D2850006 0000A505
	v_readlane_b32 s82, v3, 27                                 // 00000000B1F4: D2890052 00013703
	s_lshr_b32 s61, s82, 24                                    // 00000000B1FC: 8F3D9852
	s_and_b32 s82, s82, 0xffffff                               // 00000000B200: 8652FF52 00FFFFFF
	s_mul_i32 s82, s82, s71                                    // 00000000B208: 92524752
	s_mul_i32 s61, s60, s61                                    // 00000000B20C: 923D3D3C
	s_add_u32 s82, s82, s61                                    // 00000000B210: 80523D52
	v_mul_lo_u32 v7, v4, s82                                   // 00000000B214: D2850007 0000A504
	v_add_u32_e32 v75, v6, v7                                  // 00000000B21C: 68960F06
	v_readlane_b32 s82, v3, 28                                 // 00000000B220: D2890052 00013903
	s_lshr_b32 s61, s82, 24                                    // 00000000B228: 8F3D9852
	s_and_b32 s82, s82, 0xffffff                               // 00000000B22C: 8652FF52 00FFFFFF
	s_mul_i32 s82, s82, s71                                    // 00000000B234: 92524752
	s_mul_i32 s61, s60, s61                                    // 00000000B238: 923D3D3C
	s_add_u32 s82, s82, s61                                    // 00000000B23C: 80523D52
	v_mul_lo_u32 v6, v5, s82                                   // 00000000B240: D2850006 0000A505
	v_readlane_b32 s82, v3, 29                                 // 00000000B248: D2890052 00013B03
	s_lshr_b32 s61, s82, 24                                    // 00000000B250: 8F3D9852
	s_and_b32 s82, s82, 0xffffff                               // 00000000B254: 8652FF52 00FFFFFF
	s_mul_i32 s82, s82, s71                                    // 00000000B25C: 92524752
	s_mul_i32 s61, s60, s61                                    // 00000000B260: 923D3D3C
	s_add_u32 s82, s82, s61                                    // 00000000B264: 80523D52
	v_mul_lo_u32 v7, v4, s82                                   // 00000000B268: D2850007 0000A504
	v_add_u32_e32 v76, v6, v7                                  // 00000000B270: 68980F06
	v_readlane_b32 s82, v3, 30                                 // 00000000B274: D2890052 00013D03
	s_lshr_b32 s61, s82, 24                                    // 00000000B27C: 8F3D9852
	s_and_b32 s82, s82, 0xffffff                               // 00000000B280: 8652FF52 00FFFFFF
	s_mul_i32 s82, s82, s71                                    // 00000000B288: 92524752
	s_mul_i32 s61, s60, s61                                    // 00000000B28C: 923D3D3C
	s_add_u32 s82, s82, s61                                    // 00000000B290: 80523D52
	v_mul_lo_u32 v6, v5, s82                                   // 00000000B294: D2850006 0000A505
	v_readlane_b32 s82, v3, 31                                 // 00000000B29C: D2890052 00013F03
	s_lshr_b32 s61, s82, 24                                    // 00000000B2A4: 8F3D9852
	s_and_b32 s82, s82, 0xffffff                               // 00000000B2A8: 8652FF52 00FFFFFF
	s_mul_i32 s82, s82, s71                                    // 00000000B2B0: 92524752
	s_mul_i32 s61, s60, s61                                    // 00000000B2B4: 923D3D3C
	s_add_u32 s82, s82, s61                                    // 00000000B2B8: 80523D52
	v_mul_lo_u32 v7, v4, s82                                   // 00000000B2BC: D2850007 0000A504
	v_add_u32_e32 v77, v6, v7                                  // 00000000B2C4: 689A0F06
	v_and_b32_e32 v4, 31, v0                                   // 00000000B2C8: 2608009F
	v_lshrrev_b32_e32 v4, 1, v4                                // 00000000B2CC: 20080881
	s_cmp_eq_u32 s88, 0                                        // 00000000B2D0: BF068058
	s_cselect_b32 s61, 2, 4                                    // 00000000B2D4: 853D8482
	v_mul_lo_u32 v4, v4, s61                                   // 00000000B2D8: D2850004 00007B04
	v_and_b32_e64 v5, v0, 1                                    // 00000000B2E0: D1130005 00010300
	v_add_u32_e32 v4, v4, v5                                   // 00000000B2E8: 68080B04
	v_lshlrev_b32_e32 v4, 2, v4                                // 00000000B2EC: 24080882
	v_add_u32_e32 v62, v62, v4                                 // 00000000B2F0: 687C093E
	v_add_u32_e32 v63, v63, v4                                 // 00000000B2F4: 687E093F
	v_add_u32_e32 v64, v64, v4                                 // 00000000B2F8: 68800940
	v_add_u32_e32 v65, v65, v4                                 // 00000000B2FC: 68820941
	v_add_u32_e32 v66, v66, v4                                 // 00000000B300: 68840942
	v_add_u32_e32 v67, v67, v4                                 // 00000000B304: 68860943
	v_add_u32_e32 v68, v68, v4                                 // 00000000B308: 68880944
	v_add_u32_e32 v69, v69, v4                                 // 00000000B30C: 688A0945
	v_add_u32_e32 v70, v70, v4                                 // 00000000B310: 688C0946
	v_add_u32_e32 v71, v71, v4                                 // 00000000B314: 688E0947
	v_add_u32_e32 v72, v72, v4                                 // 00000000B318: 68900948
	v_add_u32_e32 v73, v73, v4                                 // 00000000B31C: 68920949
	v_add_u32_e32 v74, v74, v4                                 // 00000000B320: 6894094A
	v_add_u32_e32 v75, v75, v4                                 // 00000000B324: 6896094B
	v_add_u32_e32 v76, v76, v4                                 // 00000000B328: 6898094C
	v_add_u32_e32 v77, v77, v4                                 // 00000000B32C: 689A094D
	s_waitcnt lgkmcnt(0)                                       // 00000000B330: BF8CC07F
	s_barrier                                                  // 00000000B334: BF8A0000
	ds_read_b32 v80, v21                                       // 00000000B338: D86C0000 50000015
	ds_read_b32 v81, v21 offset:64                             // 00000000B340: D86C0040 51000015
	ds_read_b32 v82, v21 offset:2176                           // 00000000B348: D86C0880 52000015
	ds_read_b32 v83, v21 offset:2240                           // 00000000B350: D86C08C0 53000015
	ds_read_b32 v84, v21 offset:4352                           // 00000000B358: D86C1100 54000015
	ds_read_b32 v85, v21 offset:4416                           // 00000000B360: D86C1140 55000015
	ds_read_b32 v86, v21 offset:6528                           // 00000000B368: D86C1980 56000015
	ds_read_b32 v87, v21 offset:6592                           // 00000000B370: D86C19C0 57000015
	ds_read_b32 v88, v21 offset:8704                           // 00000000B378: D86C2200 58000015
	ds_read_b32 v89, v21 offset:8768                           // 00000000B380: D86C2240 59000015
	ds_read_b32 v90, v21 offset:10880                          // 00000000B388: D86C2A80 5A000015
	ds_read_b32 v91, v21 offset:10944                          // 00000000B390: D86C2AC0 5B000015
	ds_read_b32 v92, v21 offset:13056                          // 00000000B398: D86C3300 5C000015
	ds_read_b32 v93, v21 offset:13120                          // 00000000B3A0: D86C3340 5D000015
	ds_read_b32 v94, v21 offset:15232                          // 00000000B3A8: D86C3B80 5E000015
	ds_read_b32 v95, v21 offset:15296                          // 00000000B3B0: D86C3BC0 5F000015
	s_waitcnt lgkmcnt(0)                                       // 00000000B3B8: BF8CC07F
	s_mov_b32 s36, -1                                          // 00000000B3BC: BEA400C1
	s_mov_b32 s37, -1                                          // 00000000B3C0: BEA500C1
	v_mov_b32_e32 v7, 0                                        // 00000000B3C4: 7E0E0280
	s_or_b32 s9, s9, 0x40000                                   // 00000000B3C8: 8709FF09 00040000
	s_mov_b64 exec, s[36:37]                                   // 00000000B3D0: BEFE0124
	v_mov_b32_e32 v6, v62                                      // 00000000B3D4: 7E0C033E
	s_mov_b64 s[60:61], 0                                      // 00000000B3D8: BEBC0180
	v_readlane_b32 s82, v3, 0                                  // 00000000B3DC: D2890052 00010103
	s_and_b32 s82, s82, 0xffffff                               // 00000000B3E4: 8652FF52 00FFFFFF
	s_cmp_lt_u32 s82, s66                                      // 00000000B3EC: BF0A4252
	s_cselect_b32 s20, s36, s60                                // 00000000B3F0: 85143C24
	v_readlane_b32 s82, v3, 1                                  // 00000000B3F4: D2890052 00010303
	s_and_b32 s82, s82, 0xffffff                               // 00000000B3FC: 8652FF52 00FFFFFF
	s_cmp_lt_u32 s82, s66                                      // 00000000B404: BF0A4252
	s_cselect_b32 s21, s36, s60                                // 00000000B408: 85153C24
	s_mov_b64 exec, s[20:21]                                   // 00000000B40C: BEFE0114
	buffer_store_dword v80, v6, s[8:11], 0 offen               // 00000000B410: E0701000 80025006
	s_mov_b64 exec, s[36:37]                                   // 00000000B418: BEFE0124
	v_mov_b32_e32 v6, v63                                      // 00000000B41C: 7E0C033F
	s_mov_b64 s[60:61], 0                                      // 00000000B420: BEBC0180
	v_readlane_b32 s82, v3, 2                                  // 00000000B424: D2890052 00010503
	s_and_b32 s82, s82, 0xffffff                               // 00000000B42C: 8652FF52 00FFFFFF
	s_cmp_lt_u32 s82, s66                                      // 00000000B434: BF0A4252
	s_cselect_b32 s20, s36, s60                                // 00000000B438: 85143C24
	v_readlane_b32 s82, v3, 3                                  // 00000000B43C: D2890052 00010703
	s_and_b32 s82, s82, 0xffffff                               // 00000000B444: 8652FF52 00FFFFFF
	s_cmp_lt_u32 s82, s66                                      // 00000000B44C: BF0A4252
	s_cselect_b32 s21, s36, s60                                // 00000000B450: 85153C24
	s_mov_b64 exec, s[20:21]                                   // 00000000B454: BEFE0114
	buffer_store_dword v81, v6, s[8:11], 0 offen               // 00000000B458: E0701000 80025106
	s_mov_b64 exec, s[36:37]                                   // 00000000B460: BEFE0124
	v_mov_b32_e32 v6, v64                                      // 00000000B464: 7E0C0340
	s_mov_b64 s[60:61], 0                                      // 00000000B468: BEBC0180
	v_readlane_b32 s82, v3, 4                                  // 00000000B46C: D2890052 00010903
	s_and_b32 s82, s82, 0xffffff                               // 00000000B474: 8652FF52 00FFFFFF
	s_cmp_lt_u32 s82, s66                                      // 00000000B47C: BF0A4252
	s_cselect_b32 s20, s36, s60                                // 00000000B480: 85143C24
	v_readlane_b32 s82, v3, 5                                  // 00000000B484: D2890052 00010B03
	s_and_b32 s82, s82, 0xffffff                               // 00000000B48C: 8652FF52 00FFFFFF
	s_cmp_lt_u32 s82, s66                                      // 00000000B494: BF0A4252
	s_cselect_b32 s21, s36, s60                                // 00000000B498: 85153C24
	s_mov_b64 exec, s[20:21]                                   // 00000000B49C: BEFE0114
	buffer_store_dword v82, v6, s[8:11], 0 offen               // 00000000B4A0: E0701000 80025206
	s_mov_b64 exec, s[36:37]                                   // 00000000B4A8: BEFE0124
	v_mov_b32_e32 v6, v65                                      // 00000000B4AC: 7E0C0341
	s_mov_b64 s[60:61], 0                                      // 00000000B4B0: BEBC0180
	v_readlane_b32 s82, v3, 6                                  // 00000000B4B4: D2890052 00010D03
	s_and_b32 s82, s82, 0xffffff                               // 00000000B4BC: 8652FF52 00FFFFFF
	s_cmp_lt_u32 s82, s66                                      // 00000000B4C4: BF0A4252
	s_cselect_b32 s20, s36, s60                                // 00000000B4C8: 85143C24
	v_readlane_b32 s82, v3, 7                                  // 00000000B4CC: D2890052 00010F03
	s_and_b32 s82, s82, 0xffffff                               // 00000000B4D4: 8652FF52 00FFFFFF
	s_cmp_lt_u32 s82, s66                                      // 00000000B4DC: BF0A4252
	s_cselect_b32 s21, s36, s60                                // 00000000B4E0: 85153C24
	s_mov_b64 exec, s[20:21]                                   // 00000000B4E4: BEFE0114
	buffer_store_dword v83, v6, s[8:11], 0 offen               // 00000000B4E8: E0701000 80025306
	s_mov_b64 exec, s[36:37]                                   // 00000000B4F0: BEFE0124
	v_mov_b32_e32 v6, v66                                      // 00000000B4F4: 7E0C0342
	s_mov_b64 s[60:61], 0                                      // 00000000B4F8: BEBC0180
	v_readlane_b32 s82, v3, 8                                  // 00000000B4FC: D2890052 00011103
	s_and_b32 s82, s82, 0xffffff                               // 00000000B504: 8652FF52 00FFFFFF
	s_cmp_lt_u32 s82, s66                                      // 00000000B50C: BF0A4252
	s_cselect_b32 s20, s36, s60                                // 00000000B510: 85143C24
	v_readlane_b32 s82, v3, 9                                  // 00000000B514: D2890052 00011303
	s_and_b32 s82, s82, 0xffffff                               // 00000000B51C: 8652FF52 00FFFFFF
	s_cmp_lt_u32 s82, s66                                      // 00000000B524: BF0A4252
	s_cselect_b32 s21, s36, s60                                // 00000000B528: 85153C24
	s_mov_b64 exec, s[20:21]                                   // 00000000B52C: BEFE0114
	buffer_store_dword v84, v6, s[8:11], 0 offen               // 00000000B530: E0701000 80025406
	s_mov_b64 exec, s[36:37]                                   // 00000000B538: BEFE0124
	v_mov_b32_e32 v6, v67                                      // 00000000B53C: 7E0C0343
	s_mov_b64 s[60:61], 0                                      // 00000000B540: BEBC0180
	v_readlane_b32 s82, v3, 10                                 // 00000000B544: D2890052 00011503
	s_and_b32 s82, s82, 0xffffff                               // 00000000B54C: 8652FF52 00FFFFFF
	s_cmp_lt_u32 s82, s66                                      // 00000000B554: BF0A4252
	s_cselect_b32 s20, s36, s60                                // 00000000B558: 85143C24
	v_readlane_b32 s82, v3, 11                                 // 00000000B55C: D2890052 00011703
	s_and_b32 s82, s82, 0xffffff                               // 00000000B564: 8652FF52 00FFFFFF
	s_cmp_lt_u32 s82, s66                                      // 00000000B56C: BF0A4252
	s_cselect_b32 s21, s36, s60                                // 00000000B570: 85153C24
	s_mov_b64 exec, s[20:21]                                   // 00000000B574: BEFE0114
	buffer_store_dword v85, v6, s[8:11], 0 offen               // 00000000B578: E0701000 80025506
	s_mov_b64 exec, s[36:37]                                   // 00000000B580: BEFE0124
	v_mov_b32_e32 v6, v68                                      // 00000000B584: 7E0C0344
	s_mov_b64 s[60:61], 0                                      // 00000000B588: BEBC0180
	v_readlane_b32 s82, v3, 12                                 // 00000000B58C: D2890052 00011903
	s_and_b32 s82, s82, 0xffffff                               // 00000000B594: 8652FF52 00FFFFFF
	s_cmp_lt_u32 s82, s66                                      // 00000000B59C: BF0A4252
	s_cselect_b32 s20, s36, s60                                // 00000000B5A0: 85143C24
	v_readlane_b32 s82, v3, 13                                 // 00000000B5A4: D2890052 00011B03
	s_and_b32 s82, s82, 0xffffff                               // 00000000B5AC: 8652FF52 00FFFFFF
	s_cmp_lt_u32 s82, s66                                      // 00000000B5B4: BF0A4252
	s_cselect_b32 s21, s36, s60                                // 00000000B5B8: 85153C24
	s_mov_b64 exec, s[20:21]                                   // 00000000B5BC: BEFE0114
	buffer_store_dword v86, v6, s[8:11], 0 offen               // 00000000B5C0: E0701000 80025606
	s_mov_b64 exec, s[36:37]                                   // 00000000B5C8: BEFE0124
	v_mov_b32_e32 v6, v69                                      // 00000000B5CC: 7E0C0345
	s_mov_b64 s[60:61], 0                                      // 00000000B5D0: BEBC0180
	v_readlane_b32 s82, v3, 14                                 // 00000000B5D4: D2890052 00011D03
	s_and_b32 s82, s82, 0xffffff                               // 00000000B5DC: 8652FF52 00FFFFFF
	s_cmp_lt_u32 s82, s66                                      // 00000000B5E4: BF0A4252
	s_cselect_b32 s20, s36, s60                                // 00000000B5E8: 85143C24
	v_readlane_b32 s82, v3, 15                                 // 00000000B5EC: D2890052 00011F03
	s_and_b32 s82, s82, 0xffffff                               // 00000000B5F4: 8652FF52 00FFFFFF
	s_cmp_lt_u32 s82, s66                                      // 00000000B5FC: BF0A4252
	s_cselect_b32 s21, s36, s60                                // 00000000B600: 85153C24
	s_mov_b64 exec, s[20:21]                                   // 00000000B604: BEFE0114
	buffer_store_dword v87, v6, s[8:11], 0 offen               // 00000000B608: E0701000 80025706
	s_mov_b64 exec, s[36:37]                                   // 00000000B610: BEFE0124
	v_mov_b32_e32 v6, v70                                      // 00000000B614: 7E0C0346
	s_mov_b64 s[60:61], 0                                      // 00000000B618: BEBC0180
	v_readlane_b32 s82, v3, 16                                 // 00000000B61C: D2890052 00012103
	s_and_b32 s82, s82, 0xffffff                               // 00000000B624: 8652FF52 00FFFFFF
	s_cmp_lt_u32 s82, s66                                      // 00000000B62C: BF0A4252
	s_cselect_b32 s20, s36, s60                                // 00000000B630: 85143C24
	v_readlane_b32 s82, v3, 17                                 // 00000000B634: D2890052 00012303
	s_and_b32 s82, s82, 0xffffff                               // 00000000B63C: 8652FF52 00FFFFFF
	s_cmp_lt_u32 s82, s66                                      // 00000000B644: BF0A4252
	s_cselect_b32 s21, s36, s60                                // 00000000B648: 85153C24
	s_mov_b64 exec, s[20:21]                                   // 00000000B64C: BEFE0114
	buffer_store_dword v88, v6, s[8:11], 0 offen               // 00000000B650: E0701000 80025806
	s_mov_b64 exec, s[36:37]                                   // 00000000B658: BEFE0124
	v_mov_b32_e32 v6, v71                                      // 00000000B65C: 7E0C0347
	s_mov_b64 s[60:61], 0                                      // 00000000B660: BEBC0180
	v_readlane_b32 s82, v3, 18                                 // 00000000B664: D2890052 00012503
	s_and_b32 s82, s82, 0xffffff                               // 00000000B66C: 8652FF52 00FFFFFF
	s_cmp_lt_u32 s82, s66                                      // 00000000B674: BF0A4252
	s_cselect_b32 s20, s36, s60                                // 00000000B678: 85143C24
	v_readlane_b32 s82, v3, 19                                 // 00000000B67C: D2890052 00012703
	s_and_b32 s82, s82, 0xffffff                               // 00000000B684: 8652FF52 00FFFFFF
	s_cmp_lt_u32 s82, s66                                      // 00000000B68C: BF0A4252
	s_cselect_b32 s21, s36, s60                                // 00000000B690: 85153C24
	s_mov_b64 exec, s[20:21]                                   // 00000000B694: BEFE0114
	buffer_store_dword v89, v6, s[8:11], 0 offen               // 00000000B698: E0701000 80025906
	s_mov_b64 exec, s[36:37]                                   // 00000000B6A0: BEFE0124
	v_mov_b32_e32 v6, v72                                      // 00000000B6A4: 7E0C0348
	s_mov_b64 s[60:61], 0                                      // 00000000B6A8: BEBC0180
	v_readlane_b32 s82, v3, 20                                 // 00000000B6AC: D2890052 00012903
	s_and_b32 s82, s82, 0xffffff                               // 00000000B6B4: 8652FF52 00FFFFFF
	s_cmp_lt_u32 s82, s66                                      // 00000000B6BC: BF0A4252
	s_cselect_b32 s20, s36, s60                                // 00000000B6C0: 85143C24
	v_readlane_b32 s82, v3, 21                                 // 00000000B6C4: D2890052 00012B03
	s_and_b32 s82, s82, 0xffffff                               // 00000000B6CC: 8652FF52 00FFFFFF
	s_cmp_lt_u32 s82, s66                                      // 00000000B6D4: BF0A4252
	s_cselect_b32 s21, s36, s60                                // 00000000B6D8: 85153C24
	s_mov_b64 exec, s[20:21]                                   // 00000000B6DC: BEFE0114
	buffer_store_dword v90, v6, s[8:11], 0 offen               // 00000000B6E0: E0701000 80025A06
	s_mov_b64 exec, s[36:37]                                   // 00000000B6E8: BEFE0124
	v_mov_b32_e32 v6, v73                                      // 00000000B6EC: 7E0C0349
	s_mov_b64 s[60:61], 0                                      // 00000000B6F0: BEBC0180
	v_readlane_b32 s82, v3, 22                                 // 00000000B6F4: D2890052 00012D03
	s_and_b32 s82, s82, 0xffffff                               // 00000000B6FC: 8652FF52 00FFFFFF
	s_cmp_lt_u32 s82, s66                                      // 00000000B704: BF0A4252
	s_cselect_b32 s20, s36, s60                                // 00000000B708: 85143C24
	v_readlane_b32 s82, v3, 23                                 // 00000000B70C: D2890052 00012F03
	s_and_b32 s82, s82, 0xffffff                               // 00000000B714: 8652FF52 00FFFFFF
	s_cmp_lt_u32 s82, s66                                      // 00000000B71C: BF0A4252
	s_cselect_b32 s21, s36, s60                                // 00000000B720: 85153C24
	s_mov_b64 exec, s[20:21]                                   // 00000000B724: BEFE0114
	buffer_store_dword v91, v6, s[8:11], 0 offen               // 00000000B728: E0701000 80025B06
	s_mov_b64 exec, s[36:37]                                   // 00000000B730: BEFE0124
	v_mov_b32_e32 v6, v74                                      // 00000000B734: 7E0C034A
	s_mov_b64 s[60:61], 0                                      // 00000000B738: BEBC0180
	v_readlane_b32 s82, v3, 24                                 // 00000000B73C: D2890052 00013103
	s_and_b32 s82, s82, 0xffffff                               // 00000000B744: 8652FF52 00FFFFFF
	s_cmp_lt_u32 s82, s66                                      // 00000000B74C: BF0A4252
	s_cselect_b32 s20, s36, s60                                // 00000000B750: 85143C24
	v_readlane_b32 s82, v3, 25                                 // 00000000B754: D2890052 00013303
	s_and_b32 s82, s82, 0xffffff                               // 00000000B75C: 8652FF52 00FFFFFF
	s_cmp_lt_u32 s82, s66                                      // 00000000B764: BF0A4252
	s_cselect_b32 s21, s36, s60                                // 00000000B768: 85153C24
	s_mov_b64 exec, s[20:21]                                   // 00000000B76C: BEFE0114
	buffer_store_dword v92, v6, s[8:11], 0 offen               // 00000000B770: E0701000 80025C06
	s_mov_b64 exec, s[36:37]                                   // 00000000B778: BEFE0124
	v_mov_b32_e32 v6, v75                                      // 00000000B77C: 7E0C034B
	s_mov_b64 s[60:61], 0                                      // 00000000B780: BEBC0180
	v_readlane_b32 s82, v3, 26                                 // 00000000B784: D2890052 00013503
	s_and_b32 s82, s82, 0xffffff                               // 00000000B78C: 8652FF52 00FFFFFF
	s_cmp_lt_u32 s82, s66                                      // 00000000B794: BF0A4252
	s_cselect_b32 s20, s36, s60                                // 00000000B798: 85143C24
	v_readlane_b32 s82, v3, 27                                 // 00000000B79C: D2890052 00013703
	s_and_b32 s82, s82, 0xffffff                               // 00000000B7A4: 8652FF52 00FFFFFF
	s_cmp_lt_u32 s82, s66                                      // 00000000B7AC: BF0A4252
	s_cselect_b32 s21, s36, s60                                // 00000000B7B0: 85153C24
	s_mov_b64 exec, s[20:21]                                   // 00000000B7B4: BEFE0114
	buffer_store_dword v93, v6, s[8:11], 0 offen               // 00000000B7B8: E0701000 80025D06
	s_mov_b64 exec, s[36:37]                                   // 00000000B7C0: BEFE0124
	v_mov_b32_e32 v6, v76                                      // 00000000B7C4: 7E0C034C
	s_mov_b64 s[60:61], 0                                      // 00000000B7C8: BEBC0180
	v_readlane_b32 s82, v3, 28                                 // 00000000B7CC: D2890052 00013903
	s_and_b32 s82, s82, 0xffffff                               // 00000000B7D4: 8652FF52 00FFFFFF
	s_cmp_lt_u32 s82, s66                                      // 00000000B7DC: BF0A4252
	s_cselect_b32 s20, s36, s60                                // 00000000B7E0: 85143C24
	v_readlane_b32 s82, v3, 29                                 // 00000000B7E4: D2890052 00013B03
	s_and_b32 s82, s82, 0xffffff                               // 00000000B7EC: 8652FF52 00FFFFFF
	s_cmp_lt_u32 s82, s66                                      // 00000000B7F4: BF0A4252
	s_cselect_b32 s21, s36, s60                                // 00000000B7F8: 85153C24
	s_mov_b64 exec, s[20:21]                                   // 00000000B7FC: BEFE0114
	buffer_store_dword v94, v6, s[8:11], 0 offen               // 00000000B800: E0701000 80025E06
	s_mov_b64 exec, s[36:37]                                   // 00000000B808: BEFE0124
	v_mov_b32_e32 v6, v77                                      // 00000000B80C: 7E0C034D
	s_mov_b64 s[60:61], 0                                      // 00000000B810: BEBC0180
	v_readlane_b32 s82, v3, 30                                 // 00000000B814: D2890052 00013D03
	s_and_b32 s82, s82, 0xffffff                               // 00000000B81C: 8652FF52 00FFFFFF
	s_cmp_lt_u32 s82, s66                                      // 00000000B824: BF0A4252
	s_cselect_b32 s20, s36, s60                                // 00000000B828: 85143C24
	v_readlane_b32 s82, v3, 31                                 // 00000000B82C: D2890052 00013F03
	s_and_b32 s82, s82, 0xffffff                               // 00000000B834: 8652FF52 00FFFFFF
	s_cmp_lt_u32 s82, s66                                      // 00000000B83C: BF0A4252
	s_cselect_b32 s21, s36, s60                                // 00000000B840: 85153C24
	s_mov_b64 exec, s[20:21]                                   // 00000000B844: BEFE0114
	buffer_store_dword v95, v6, s[8:11], 0 offen               // 00000000B848: E0701000 80025F06
	s_mov_b64 exec, s[36:37]                                   // 00000000B850: BEFE0124
	s_branch label_2A63                                        // 00000000B854: BF8206CA

000000000000b858 <label_2399>:
	ds_write_b64 v20, v[80:81]                                 // 00000000B858: D89A0000 00005014
	ds_write_b64 v20, v[84:85] offset:2176                     // 00000000B860: D89A0880 00005414
	ds_write_b64 v20, v[88:89] offset:4352                     // 00000000B868: D89A1100 00005814
	ds_write_b64 v20, v[92:93] offset:6528                     // 00000000B870: D89A1980 00005C14
	ds_write_b64 v20, v[96:97] offset:8704                     // 00000000B878: D89A2200 00006014
	ds_write_b64 v20, v[100:101] offset:10880                  // 00000000B880: D89A2A80 00006414
	ds_write_b64 v20, v[104:105] offset:13056                  // 00000000B888: D89A3300 00006814
	ds_write_b64 v20, v[108:109] offset:15232                  // 00000000B890: D89A3B80 00006C14
	v_lshrrev_b32_e32 v4, 5, v0                                // 00000000B898: 20080085
	v_xor_b32_e32 v5, 1, v4                                    // 00000000B89C: 2A0A0881
	s_mul_i32 s60, s65, 2                                      // 00000000B8A0: 923C8241
	s_cmp_eq_u32 s88, 0                                        // 00000000B8A4: BF068058
	s_cselect_b32 s61, 1, 4                                    // 00000000B8A8: 853D8481
	s_mul_i32 s60, s61, s60                                    // 00000000B8AC: 923C3C3D
	v_readlane_b32 s82, v3, 0                                  // 00000000B8B0: D2890052 00010103
	s_lshr_b32 s61, s82, 24                                    // 00000000B8B8: 8F3D9852
	s_and_b32 s82, s82, 0xffffff                               // 00000000B8BC: 8652FF52 00FFFFFF
	s_mul_i32 s82, s82, s71                                    // 00000000B8C4: 92524752
	s_mul_i32 s61, s60, s61                                    // 00000000B8C8: 923D3D3C
	s_add_u32 s82, s82, s61                                    // 00000000B8CC: 80523D52
	v_mul_lo_u32 v6, v5, s82                                   // 00000000B8D0: D2850006 0000A505
	v_readlane_b32 s82, v3, 1                                  // 00000000B8D8: D2890052 00010303
	s_lshr_b32 s61, s82, 24                                    // 00000000B8E0: 8F3D9852
	s_and_b32 s82, s82, 0xffffff                               // 00000000B8E4: 8652FF52 00FFFFFF
	s_mul_i32 s82, s82, s71                                    // 00000000B8EC: 92524752
	s_mul_i32 s61, s60, s61                                    // 00000000B8F0: 923D3D3C
	s_add_u32 s82, s82, s61                                    // 00000000B8F4: 80523D52
	v_mul_lo_u32 v7, v4, s82                                   // 00000000B8F8: D2850007 0000A504
	v_add_u32_e32 v62, v6, v7                                  // 00000000B900: 687C0F06
	v_readlane_b32 s82, v3, 2                                  // 00000000B904: D2890052 00010503
	s_lshr_b32 s61, s82, 24                                    // 00000000B90C: 8F3D9852
	s_and_b32 s82, s82, 0xffffff                               // 00000000B910: 8652FF52 00FFFFFF
	s_mul_i32 s82, s82, s71                                    // 00000000B918: 92524752
	s_mul_i32 s61, s60, s61                                    // 00000000B91C: 923D3D3C
	s_add_u32 s82, s82, s61                                    // 00000000B920: 80523D52
	v_mul_lo_u32 v6, v5, s82                                   // 00000000B924: D2850006 0000A505
	v_readlane_b32 s82, v3, 3                                  // 00000000B92C: D2890052 00010703
	s_lshr_b32 s61, s82, 24                                    // 00000000B934: 8F3D9852
	s_and_b32 s82, s82, 0xffffff                               // 00000000B938: 8652FF52 00FFFFFF
	s_mul_i32 s82, s82, s71                                    // 00000000B940: 92524752
	s_mul_i32 s61, s60, s61                                    // 00000000B944: 923D3D3C
	s_add_u32 s82, s82, s61                                    // 00000000B948: 80523D52
	v_mul_lo_u32 v7, v4, s82                                   // 00000000B94C: D2850007 0000A504
	v_add_u32_e32 v63, v6, v7                                  // 00000000B954: 687E0F06
	v_readlane_b32 s82, v3, 4                                  // 00000000B958: D2890052 00010903
	s_lshr_b32 s61, s82, 24                                    // 00000000B960: 8F3D9852
	s_and_b32 s82, s82, 0xffffff                               // 00000000B964: 8652FF52 00FFFFFF
	s_mul_i32 s82, s82, s71                                    // 00000000B96C: 92524752
	s_mul_i32 s61, s60, s61                                    // 00000000B970: 923D3D3C
	s_add_u32 s82, s82, s61                                    // 00000000B974: 80523D52
	v_mul_lo_u32 v6, v5, s82                                   // 00000000B978: D2850006 0000A505
	v_readlane_b32 s82, v3, 5                                  // 00000000B980: D2890052 00010B03
	s_lshr_b32 s61, s82, 24                                    // 00000000B988: 8F3D9852
	s_and_b32 s82, s82, 0xffffff                               // 00000000B98C: 8652FF52 00FFFFFF
	s_mul_i32 s82, s82, s71                                    // 00000000B994: 92524752
	s_mul_i32 s61, s60, s61                                    // 00000000B998: 923D3D3C
	s_add_u32 s82, s82, s61                                    // 00000000B99C: 80523D52
	v_mul_lo_u32 v7, v4, s82                                   // 00000000B9A0: D2850007 0000A504
	v_add_u32_e32 v64, v6, v7                                  // 00000000B9A8: 68800F06
	v_readlane_b32 s82, v3, 6                                  // 00000000B9AC: D2890052 00010D03
	s_lshr_b32 s61, s82, 24                                    // 00000000B9B4: 8F3D9852
	s_and_b32 s82, s82, 0xffffff                               // 00000000B9B8: 8652FF52 00FFFFFF
	s_mul_i32 s82, s82, s71                                    // 00000000B9C0: 92524752
	s_mul_i32 s61, s60, s61                                    // 00000000B9C4: 923D3D3C
	s_add_u32 s82, s82, s61                                    // 00000000B9C8: 80523D52
	v_mul_lo_u32 v6, v5, s82                                   // 00000000B9CC: D2850006 0000A505
	v_readlane_b32 s82, v3, 7                                  // 00000000B9D4: D2890052 00010F03
	s_lshr_b32 s61, s82, 24                                    // 00000000B9DC: 8F3D9852
	s_and_b32 s82, s82, 0xffffff                               // 00000000B9E0: 8652FF52 00FFFFFF
	s_mul_i32 s82, s82, s71                                    // 00000000B9E8: 92524752
	s_mul_i32 s61, s60, s61                                    // 00000000B9EC: 923D3D3C
	s_add_u32 s82, s82, s61                                    // 00000000B9F0: 80523D52
	v_mul_lo_u32 v7, v4, s82                                   // 00000000B9F4: D2850007 0000A504
	v_add_u32_e32 v65, v6, v7                                  // 00000000B9FC: 68820F06
	v_readlane_b32 s82, v3, 8                                  // 00000000BA00: D2890052 00011103
	s_lshr_b32 s61, s82, 24                                    // 00000000BA08: 8F3D9852
	s_and_b32 s82, s82, 0xffffff                               // 00000000BA0C: 8652FF52 00FFFFFF
	s_mul_i32 s82, s82, s71                                    // 00000000BA14: 92524752
	s_mul_i32 s61, s60, s61                                    // 00000000BA18: 923D3D3C
	s_add_u32 s82, s82, s61                                    // 00000000BA1C: 80523D52
	v_mul_lo_u32 v6, v5, s82                                   // 00000000BA20: D2850006 0000A505
	v_readlane_b32 s82, v3, 9                                  // 00000000BA28: D2890052 00011303
	s_lshr_b32 s61, s82, 24                                    // 00000000BA30: 8F3D9852
	s_and_b32 s82, s82, 0xffffff                               // 00000000BA34: 8652FF52 00FFFFFF
	s_mul_i32 s82, s82, s71                                    // 00000000BA3C: 92524752
	s_mul_i32 s61, s60, s61                                    // 00000000BA40: 923D3D3C
	s_add_u32 s82, s82, s61                                    // 00000000BA44: 80523D52
	v_mul_lo_u32 v7, v4, s82                                   // 00000000BA48: D2850007 0000A504
	v_add_u32_e32 v66, v6, v7                                  // 00000000BA50: 68840F06
	v_readlane_b32 s82, v3, 10                                 // 00000000BA54: D2890052 00011503
	s_lshr_b32 s61, s82, 24                                    // 00000000BA5C: 8F3D9852
	s_and_b32 s82, s82, 0xffffff                               // 00000000BA60: 8652FF52 00FFFFFF
	s_mul_i32 s82, s82, s71                                    // 00000000BA68: 92524752
	s_mul_i32 s61, s60, s61                                    // 00000000BA6C: 923D3D3C
	s_add_u32 s82, s82, s61                                    // 00000000BA70: 80523D52
	v_mul_lo_u32 v6, v5, s82                                   // 00000000BA74: D2850006 0000A505
	v_readlane_b32 s82, v3, 11                                 // 00000000BA7C: D2890052 00011703
	s_lshr_b32 s61, s82, 24                                    // 00000000BA84: 8F3D9852
	s_and_b32 s82, s82, 0xffffff                               // 00000000BA88: 8652FF52 00FFFFFF
	s_mul_i32 s82, s82, s71                                    // 00000000BA90: 92524752
	s_mul_i32 s61, s60, s61                                    // 00000000BA94: 923D3D3C
	s_add_u32 s82, s82, s61                                    // 00000000BA98: 80523D52
	v_mul_lo_u32 v7, v4, s82                                   // 00000000BA9C: D2850007 0000A504
	v_add_u32_e32 v67, v6, v7                                  // 00000000BAA4: 68860F06
	v_readlane_b32 s82, v3, 12                                 // 00000000BAA8: D2890052 00011903
	s_lshr_b32 s61, s82, 24                                    // 00000000BAB0: 8F3D9852
	s_and_b32 s82, s82, 0xffffff                               // 00000000BAB4: 8652FF52 00FFFFFF
	s_mul_i32 s82, s82, s71                                    // 00000000BABC: 92524752
	s_mul_i32 s61, s60, s61                                    // 00000000BAC0: 923D3D3C
	s_add_u32 s82, s82, s61                                    // 00000000BAC4: 80523D52
	v_mul_lo_u32 v6, v5, s82                                   // 00000000BAC8: D2850006 0000A505
	v_readlane_b32 s82, v3, 13                                 // 00000000BAD0: D2890052 00011B03
	s_lshr_b32 s61, s82, 24                                    // 00000000BAD8: 8F3D9852
	s_and_b32 s82, s82, 0xffffff                               // 00000000BADC: 8652FF52 00FFFFFF
	s_mul_i32 s82, s82, s71                                    // 00000000BAE4: 92524752
	s_mul_i32 s61, s60, s61                                    // 00000000BAE8: 923D3D3C
	s_add_u32 s82, s82, s61                                    // 00000000BAEC: 80523D52
	v_mul_lo_u32 v7, v4, s82                                   // 00000000BAF0: D2850007 0000A504
	v_add_u32_e32 v68, v6, v7                                  // 00000000BAF8: 68880F06
	v_readlane_b32 s82, v3, 14                                 // 00000000BAFC: D2890052 00011D03
	s_lshr_b32 s61, s82, 24                                    // 00000000BB04: 8F3D9852
	s_and_b32 s82, s82, 0xffffff                               // 00000000BB08: 8652FF52 00FFFFFF
	s_mul_i32 s82, s82, s71                                    // 00000000BB10: 92524752
	s_mul_i32 s61, s60, s61                                    // 00000000BB14: 923D3D3C
	s_add_u32 s82, s82, s61                                    // 00000000BB18: 80523D52
	v_mul_lo_u32 v6, v5, s82                                   // 00000000BB1C: D2850006 0000A505
	v_readlane_b32 s82, v3, 15                                 // 00000000BB24: D2890052 00011F03
	s_lshr_b32 s61, s82, 24                                    // 00000000BB2C: 8F3D9852
	s_and_b32 s82, s82, 0xffffff                               // 00000000BB30: 8652FF52 00FFFFFF
	s_mul_i32 s82, s82, s71                                    // 00000000BB38: 92524752
	s_mul_i32 s61, s60, s61                                    // 00000000BB3C: 923D3D3C
	s_add_u32 s82, s82, s61                                    // 00000000BB40: 80523D52
	v_mul_lo_u32 v7, v4, s82                                   // 00000000BB44: D2850007 0000A504
	v_add_u32_e32 v69, v6, v7                                  // 00000000BB4C: 688A0F06
	v_readlane_b32 s82, v3, 16                                 // 00000000BB50: D2890052 00012103
	s_lshr_b32 s61, s82, 24                                    // 00000000BB58: 8F3D9852
	s_and_b32 s82, s82, 0xffffff                               // 00000000BB5C: 8652FF52 00FFFFFF
	s_mul_i32 s82, s82, s71                                    // 00000000BB64: 92524752
	s_mul_i32 s61, s60, s61                                    // 00000000BB68: 923D3D3C
	s_add_u32 s82, s82, s61                                    // 00000000BB6C: 80523D52
	v_mul_lo_u32 v6, v5, s82                                   // 00000000BB70: D2850006 0000A505
	v_readlane_b32 s82, v3, 17                                 // 00000000BB78: D2890052 00012303
	s_lshr_b32 s61, s82, 24                                    // 00000000BB80: 8F3D9852
	s_and_b32 s82, s82, 0xffffff                               // 00000000BB84: 8652FF52 00FFFFFF
	s_mul_i32 s82, s82, s71                                    // 00000000BB8C: 92524752
	s_mul_i32 s61, s60, s61                                    // 00000000BB90: 923D3D3C
	s_add_u32 s82, s82, s61                                    // 00000000BB94: 80523D52
	v_mul_lo_u32 v7, v4, s82                                   // 00000000BB98: D2850007 0000A504
	v_add_u32_e32 v70, v6, v7                                  // 00000000BBA0: 688C0F06
	v_readlane_b32 s82, v3, 18                                 // 00000000BBA4: D2890052 00012503
	s_lshr_b32 s61, s82, 24                                    // 00000000BBAC: 8F3D9852
	s_and_b32 s82, s82, 0xffffff                               // 00000000BBB0: 8652FF52 00FFFFFF
	s_mul_i32 s82, s82, s71                                    // 00000000BBB8: 92524752
	s_mul_i32 s61, s60, s61                                    // 00000000BBBC: 923D3D3C
	s_add_u32 s82, s82, s61                                    // 00000000BBC0: 80523D52
	v_mul_lo_u32 v6, v5, s82                                   // 00000000BBC4: D2850006 0000A505
	v_readlane_b32 s82, v3, 19                                 // 00000000BBCC: D2890052 00012703
	s_lshr_b32 s61, s82, 24                                    // 00000000BBD4: 8F3D9852
	s_and_b32 s82, s82, 0xffffff                               // 00000000BBD8: 8652FF52 00FFFFFF
	s_mul_i32 s82, s82, s71                                    // 00000000BBE0: 92524752
	s_mul_i32 s61, s60, s61                                    // 00000000BBE4: 923D3D3C
	s_add_u32 s82, s82, s61                                    // 00000000BBE8: 80523D52
	v_mul_lo_u32 v7, v4, s82                                   // 00000000BBEC: D2850007 0000A504
	v_add_u32_e32 v71, v6, v7                                  // 00000000BBF4: 688E0F06
	v_readlane_b32 s82, v3, 20                                 // 00000000BBF8: D2890052 00012903
	s_lshr_b32 s61, s82, 24                                    // 00000000BC00: 8F3D9852
	s_and_b32 s82, s82, 0xffffff                               // 00000000BC04: 8652FF52 00FFFFFF
	s_mul_i32 s82, s82, s71                                    // 00000000BC0C: 92524752
	s_mul_i32 s61, s60, s61                                    // 00000000BC10: 923D3D3C
	s_add_u32 s82, s82, s61                                    // 00000000BC14: 80523D52
	v_mul_lo_u32 v6, v5, s82                                   // 00000000BC18: D2850006 0000A505
	v_readlane_b32 s82, v3, 21                                 // 00000000BC20: D2890052 00012B03
	s_lshr_b32 s61, s82, 24                                    // 00000000BC28: 8F3D9852
	s_and_b32 s82, s82, 0xffffff                               // 00000000BC2C: 8652FF52 00FFFFFF
	s_mul_i32 s82, s82, s71                                    // 00000000BC34: 92524752
	s_mul_i32 s61, s60, s61                                    // 00000000BC38: 923D3D3C
	s_add_u32 s82, s82, s61                                    // 00000000BC3C: 80523D52
	v_mul_lo_u32 v7, v4, s82                                   // 00000000BC40: D2850007 0000A504
	v_add_u32_e32 v72, v6, v7                                  // 00000000BC48: 68900F06
	v_readlane_b32 s82, v3, 22                                 // 00000000BC4C: D2890052 00012D03
	s_lshr_b32 s61, s82, 24                                    // 00000000BC54: 8F3D9852
	s_and_b32 s82, s82, 0xffffff                               // 00000000BC58: 8652FF52 00FFFFFF
	s_mul_i32 s82, s82, s71                                    // 00000000BC60: 92524752
	s_mul_i32 s61, s60, s61                                    // 00000000BC64: 923D3D3C
	s_add_u32 s82, s82, s61                                    // 00000000BC68: 80523D52
	v_mul_lo_u32 v6, v5, s82                                   // 00000000BC6C: D2850006 0000A505
	v_readlane_b32 s82, v3, 23                                 // 00000000BC74: D2890052 00012F03
	s_lshr_b32 s61, s82, 24                                    // 00000000BC7C: 8F3D9852
	s_and_b32 s82, s82, 0xffffff                               // 00000000BC80: 8652FF52 00FFFFFF
	s_mul_i32 s82, s82, s71                                    // 00000000BC88: 92524752
	s_mul_i32 s61, s60, s61                                    // 00000000BC8C: 923D3D3C
	s_add_u32 s82, s82, s61                                    // 00000000BC90: 80523D52
	v_mul_lo_u32 v7, v4, s82                                   // 00000000BC94: D2850007 0000A504
	v_add_u32_e32 v73, v6, v7                                  // 00000000BC9C: 68920F06
	v_readlane_b32 s82, v3, 24                                 // 00000000BCA0: D2890052 00013103
	s_lshr_b32 s61, s82, 24                                    // 00000000BCA8: 8F3D9852
	s_and_b32 s82, s82, 0xffffff                               // 00000000BCAC: 8652FF52 00FFFFFF
	s_mul_i32 s82, s82, s71                                    // 00000000BCB4: 92524752
	s_mul_i32 s61, s60, s61                                    // 00000000BCB8: 923D3D3C
	s_add_u32 s82, s82, s61                                    // 00000000BCBC: 80523D52
	v_mul_lo_u32 v6, v5, s82                                   // 00000000BCC0: D2850006 0000A505
	v_readlane_b32 s82, v3, 25                                 // 00000000BCC8: D2890052 00013303
	s_lshr_b32 s61, s82, 24                                    // 00000000BCD0: 8F3D9852
	s_and_b32 s82, s82, 0xffffff                               // 00000000BCD4: 8652FF52 00FFFFFF
	s_mul_i32 s82, s82, s71                                    // 00000000BCDC: 92524752
	s_mul_i32 s61, s60, s61                                    // 00000000BCE0: 923D3D3C
	s_add_u32 s82, s82, s61                                    // 00000000BCE4: 80523D52
	v_mul_lo_u32 v7, v4, s82                                   // 00000000BCE8: D2850007 0000A504
	v_add_u32_e32 v74, v6, v7                                  // 00000000BCF0: 68940F06
	v_readlane_b32 s82, v3, 26                                 // 00000000BCF4: D2890052 00013503
	s_lshr_b32 s61, s82, 24                                    // 00000000BCFC: 8F3D9852
	s_and_b32 s82, s82, 0xffffff                               // 00000000BD00: 8652FF52 00FFFFFF
	s_mul_i32 s82, s82, s71                                    // 00000000BD08: 92524752
	s_mul_i32 s61, s60, s61                                    // 00000000BD0C: 923D3D3C
	s_add_u32 s82, s82, s61                                    // 00000000BD10: 80523D52
	v_mul_lo_u32 v6, v5, s82                                   // 00000000BD14: D2850006 0000A505
	v_readlane_b32 s82, v3, 27                                 // 00000000BD1C: D2890052 00013703
	s_lshr_b32 s61, s82, 24                                    // 00000000BD24: 8F3D9852
	s_and_b32 s82, s82, 0xffffff                               // 00000000BD28: 8652FF52 00FFFFFF
	s_mul_i32 s82, s82, s71                                    // 00000000BD30: 92524752
	s_mul_i32 s61, s60, s61                                    // 00000000BD34: 923D3D3C
	s_add_u32 s82, s82, s61                                    // 00000000BD38: 80523D52
	v_mul_lo_u32 v7, v4, s82                                   // 00000000BD3C: D2850007 0000A504
	v_add_u32_e32 v75, v6, v7                                  // 00000000BD44: 68960F06
	v_readlane_b32 s82, v3, 28                                 // 00000000BD48: D2890052 00013903
	s_lshr_b32 s61, s82, 24                                    // 00000000BD50: 8F3D9852
	s_and_b32 s82, s82, 0xffffff                               // 00000000BD54: 8652FF52 00FFFFFF
	s_mul_i32 s82, s82, s71                                    // 00000000BD5C: 92524752
	s_mul_i32 s61, s60, s61                                    // 00000000BD60: 923D3D3C
	s_add_u32 s82, s82, s61                                    // 00000000BD64: 80523D52
	v_mul_lo_u32 v6, v5, s82                                   // 00000000BD68: D2850006 0000A505
	v_readlane_b32 s82, v3, 29                                 // 00000000BD70: D2890052 00013B03
	s_lshr_b32 s61, s82, 24                                    // 00000000BD78: 8F3D9852
	s_and_b32 s82, s82, 0xffffff                               // 00000000BD7C: 8652FF52 00FFFFFF
	s_mul_i32 s82, s82, s71                                    // 00000000BD84: 92524752
	s_mul_i32 s61, s60, s61                                    // 00000000BD88: 923D3D3C
	s_add_u32 s82, s82, s61                                    // 00000000BD8C: 80523D52
	v_mul_lo_u32 v7, v4, s82                                   // 00000000BD90: D2850007 0000A504
	v_add_u32_e32 v76, v6, v7                                  // 00000000BD98: 68980F06
	v_readlane_b32 s82, v3, 30                                 // 00000000BD9C: D2890052 00013D03
	s_lshr_b32 s61, s82, 24                                    // 00000000BDA4: 8F3D9852
	s_and_b32 s82, s82, 0xffffff                               // 00000000BDA8: 8652FF52 00FFFFFF
	s_mul_i32 s82, s82, s71                                    // 00000000BDB0: 92524752
	s_mul_i32 s61, s60, s61                                    // 00000000BDB4: 923D3D3C
	s_add_u32 s82, s82, s61                                    // 00000000BDB8: 80523D52
	v_mul_lo_u32 v6, v5, s82                                   // 00000000BDBC: D2850006 0000A505
	v_readlane_b32 s82, v3, 31                                 // 00000000BDC4: D2890052 00013F03
	s_lshr_b32 s61, s82, 24                                    // 00000000BDCC: 8F3D9852
	s_and_b32 s82, s82, 0xffffff                               // 00000000BDD0: 8652FF52 00FFFFFF
	s_mul_i32 s82, s82, s71                                    // 00000000BDD8: 92524752
	s_mul_i32 s61, s60, s61                                    // 00000000BDDC: 923D3D3C
	s_add_u32 s82, s82, s61                                    // 00000000BDE0: 80523D52
	v_mul_lo_u32 v7, v4, s82                                   // 00000000BDE4: D2850007 0000A504
	v_add_u32_e32 v77, v6, v7                                  // 00000000BDEC: 689A0F06
	v_and_b32_e32 v4, 31, v0                                   // 00000000BDF0: 2608009F
	v_lshrrev_b32_e32 v4, 1, v4                                // 00000000BDF4: 20080881
	s_cmp_eq_u32 s88, 0                                        // 00000000BDF8: BF068058
	s_cselect_b32 s61, 2, 4                                    // 00000000BDFC: 853D8482
	v_mul_lo_u32 v4, v4, s61                                   // 00000000BE00: D2850004 00007B04
	v_and_b32_e64 v5, v0, 1                                    // 00000000BE08: D1130005 00010300
	v_add_u32_e32 v4, v4, v5                                   // 00000000BE10: 68080B04
	v_lshlrev_b32_e32 v4, 2, v4                                // 00000000BE14: 24080882
	v_add_u32_e32 v62, v62, v4                                 // 00000000BE18: 687C093E
	v_add_u32_e32 v63, v63, v4                                 // 00000000BE1C: 687E093F
	v_add_u32_e32 v64, v64, v4                                 // 00000000BE20: 68800940
	v_add_u32_e32 v65, v65, v4                                 // 00000000BE24: 68820941
	v_add_u32_e32 v66, v66, v4                                 // 00000000BE28: 68840942
	v_add_u32_e32 v67, v67, v4                                 // 00000000BE2C: 68860943
	v_add_u32_e32 v68, v68, v4                                 // 00000000BE30: 68880944
	v_add_u32_e32 v69, v69, v4                                 // 00000000BE34: 688A0945
	v_add_u32_e32 v70, v70, v4                                 // 00000000BE38: 688C0946
	v_add_u32_e32 v71, v71, v4                                 // 00000000BE3C: 688E0947
	v_add_u32_e32 v72, v72, v4                                 // 00000000BE40: 68900948
	v_add_u32_e32 v73, v73, v4                                 // 00000000BE44: 68920949
	v_add_u32_e32 v74, v74, v4                                 // 00000000BE48: 6894094A
	v_add_u32_e32 v75, v75, v4                                 // 00000000BE4C: 6896094B
	v_add_u32_e32 v76, v76, v4                                 // 00000000BE50: 6898094C
	v_add_u32_e32 v77, v77, v4                                 // 00000000BE54: 689A094D
	s_waitcnt lgkmcnt(0)                                       // 00000000BE58: BF8CC07F
	s_barrier                                                  // 00000000BE5C: BF8A0000
	ds_read_b32 v80, v21                                       // 00000000BE60: D86C0000 50000015
	ds_read_b32 v81, v21 offset:64                             // 00000000BE68: D86C0040 51000015
	ds_read_b32 v84, v21 offset:2176                           // 00000000BE70: D86C0880 54000015
	ds_read_b32 v85, v21 offset:2240                           // 00000000BE78: D86C08C0 55000015
	ds_read_b32 v88, v21 offset:4352                           // 00000000BE80: D86C1100 58000015
	ds_read_b32 v89, v21 offset:4416                           // 00000000BE88: D86C1140 59000015
	ds_read_b32 v92, v21 offset:6528                           // 00000000BE90: D86C1980 5C000015
	ds_read_b32 v93, v21 offset:6592                           // 00000000BE98: D86C19C0 5D000015
	ds_read_b32 v96, v21 offset:8704                           // 00000000BEA0: D86C2200 60000015
	ds_read_b32 v97, v21 offset:8768                           // 00000000BEA8: D86C2240 61000015
	ds_read_b32 v100, v21 offset:10880                         // 00000000BEB0: D86C2A80 64000015
	ds_read_b32 v101, v21 offset:10944                         // 00000000BEB8: D86C2AC0 65000015
	ds_read_b32 v104, v21 offset:13056                         // 00000000BEC0: D86C3300 68000015
	ds_read_b32 v105, v21 offset:13120                         // 00000000BEC8: D86C3340 69000015
	ds_read_b32 v108, v21 offset:15232                         // 00000000BED0: D86C3B80 6C000015
	ds_read_b32 v109, v21 offset:15296                         // 00000000BED8: D86C3BC0 6D000015
	s_waitcnt lgkmcnt(0)                                       // 00000000BEE0: BF8CC07F
	s_mov_b32 s36, -1                                          // 00000000BEE4: BEA400C1
	s_mov_b32 s37, -1                                          // 00000000BEE8: BEA500C1
	v_mov_b32_e32 v7, 0                                        // 00000000BEEC: 7E0E0280
	s_mov_b64 exec, s[36:37]                                   // 00000000BEF0: BEFE0124
	v_mov_b32_e32 v6, v62                                      // 00000000BEF4: 7E0C033E
	s_mov_b64 s[60:61], 0                                      // 00000000BEF8: BEBC0180
	v_readlane_b32 s82, v3, 0                                  // 00000000BEFC: D2890052 00010103
	s_and_b32 s82, s82, 0xffffff                               // 00000000BF04: 8652FF52 00FFFFFF
	s_cmp_lt_u32 s82, s66                                      // 00000000BF0C: BF0A4252
	s_cselect_b32 s20, s36, s60                                // 00000000BF10: 85143C24
	v_readlane_b32 s82, v3, 1                                  // 00000000BF14: D2890052 00010303
	s_and_b32 s82, s82, 0xffffff                               // 00000000BF1C: 8652FF52 00FFFFFF
	s_cmp_lt_u32 s82, s66                                      // 00000000BF24: BF0A4252
	s_cselect_b32 s21, s36, s60                                // 00000000BF28: 85153C24
	s_mov_b64 exec, s[20:21]                                   // 00000000BF2C: BEFE0114
	global_atomic_add_f32 v6, v80, s[8:9]                      // 00000000BF30: DD348000 00085006
	s_mov_b64 exec, s[36:37]                                   // 00000000BF38: BEFE0124
	v_mov_b32_e32 v6, v63                                      // 00000000BF3C: 7E0C033F
	s_mov_b64 s[60:61], 0                                      // 00000000BF40: BEBC0180
	v_readlane_b32 s82, v3, 2                                  // 00000000BF44: D2890052 00010503
	s_and_b32 s82, s82, 0xffffff                               // 00000000BF4C: 8652FF52 00FFFFFF
	s_cmp_lt_u32 s82, s66                                      // 00000000BF54: BF0A4252
	s_cselect_b32 s20, s36, s60                                // 00000000BF58: 85143C24
	v_readlane_b32 s82, v3, 3                                  // 00000000BF5C: D2890052 00010703
	s_and_b32 s82, s82, 0xffffff                               // 00000000BF64: 8652FF52 00FFFFFF
	s_cmp_lt_u32 s82, s66                                      // 00000000BF6C: BF0A4252
	s_cselect_b32 s21, s36, s60                                // 00000000BF70: 85153C24
	s_mov_b64 exec, s[20:21]                                   // 00000000BF74: BEFE0114
	global_atomic_add_f32 v6, v81, s[8:9]                      // 00000000BF78: DD348000 00085106
	s_mov_b64 exec, s[36:37]                                   // 00000000BF80: BEFE0124
	v_mov_b32_e32 v6, v64                                      // 00000000BF84: 7E0C0340
	s_mov_b64 s[60:61], 0                                      // 00000000BF88: BEBC0180
	v_readlane_b32 s82, v3, 4                                  // 00000000BF8C: D2890052 00010903
	s_and_b32 s82, s82, 0xffffff                               // 00000000BF94: 8652FF52 00FFFFFF
	s_cmp_lt_u32 s82, s66                                      // 00000000BF9C: BF0A4252
	s_cselect_b32 s20, s36, s60                                // 00000000BFA0: 85143C24
	v_readlane_b32 s82, v3, 5                                  // 00000000BFA4: D2890052 00010B03
	s_and_b32 s82, s82, 0xffffff                               // 00000000BFAC: 8652FF52 00FFFFFF
	s_cmp_lt_u32 s82, s66                                      // 00000000BFB4: BF0A4252
	s_cselect_b32 s21, s36, s60                                // 00000000BFB8: 85153C24
	s_mov_b64 exec, s[20:21]                                   // 00000000BFBC: BEFE0114
	global_atomic_add_f32 v6, v84, s[8:9]                      // 00000000BFC0: DD348000 00085406
	s_mov_b64 exec, s[36:37]                                   // 00000000BFC8: BEFE0124
	v_mov_b32_e32 v6, v65                                      // 00000000BFCC: 7E0C0341
	s_mov_b64 s[60:61], 0                                      // 00000000BFD0: BEBC0180
	v_readlane_b32 s82, v3, 6                                  // 00000000BFD4: D2890052 00010D03
	s_and_b32 s82, s82, 0xffffff                               // 00000000BFDC: 8652FF52 00FFFFFF
	s_cmp_lt_u32 s82, s66                                      // 00000000BFE4: BF0A4252
	s_cselect_b32 s20, s36, s60                                // 00000000BFE8: 85143C24
	v_readlane_b32 s82, v3, 7                                  // 00000000BFEC: D2890052 00010F03
	s_and_b32 s82, s82, 0xffffff                               // 00000000BFF4: 8652FF52 00FFFFFF
	s_cmp_lt_u32 s82, s66                                      // 00000000BFFC: BF0A4252
	s_cselect_b32 s21, s36, s60                                // 00000000C000: 85153C24
	s_mov_b64 exec, s[20:21]                                   // 00000000C004: BEFE0114
	global_atomic_add_f32 v6, v85, s[8:9]                      // 00000000C008: DD348000 00085506
	s_mov_b64 exec, s[36:37]                                   // 00000000C010: BEFE0124
	v_mov_b32_e32 v6, v66                                      // 00000000C014: 7E0C0342
	s_mov_b64 s[60:61], 0                                      // 00000000C018: BEBC0180
	v_readlane_b32 s82, v3, 8                                  // 00000000C01C: D2890052 00011103
	s_and_b32 s82, s82, 0xffffff                               // 00000000C024: 8652FF52 00FFFFFF
	s_cmp_lt_u32 s82, s66                                      // 00000000C02C: BF0A4252
	s_cselect_b32 s20, s36, s60                                // 00000000C030: 85143C24
	v_readlane_b32 s82, v3, 9                                  // 00000000C034: D2890052 00011303
	s_and_b32 s82, s82, 0xffffff                               // 00000000C03C: 8652FF52 00FFFFFF
	s_cmp_lt_u32 s82, s66                                      // 00000000C044: BF0A4252
	s_cselect_b32 s21, s36, s60                                // 00000000C048: 85153C24
	s_mov_b64 exec, s[20:21]                                   // 00000000C04C: BEFE0114
	global_atomic_add_f32 v6, v88, s[8:9]                      // 00000000C050: DD348000 00085806
	s_mov_b64 exec, s[36:37]                                   // 00000000C058: BEFE0124
	v_mov_b32_e32 v6, v67                                      // 00000000C05C: 7E0C0343
	s_mov_b64 s[60:61], 0                                      // 00000000C060: BEBC0180
	v_readlane_b32 s82, v3, 10                                 // 00000000C064: D2890052 00011503
	s_and_b32 s82, s82, 0xffffff                               // 00000000C06C: 8652FF52 00FFFFFF
	s_cmp_lt_u32 s82, s66                                      // 00000000C074: BF0A4252
	s_cselect_b32 s20, s36, s60                                // 00000000C078: 85143C24
	v_readlane_b32 s82, v3, 11                                 // 00000000C07C: D2890052 00011703
	s_and_b32 s82, s82, 0xffffff                               // 00000000C084: 8652FF52 00FFFFFF
	s_cmp_lt_u32 s82, s66                                      // 00000000C08C: BF0A4252
	s_cselect_b32 s21, s36, s60                                // 00000000C090: 85153C24
	s_mov_b64 exec, s[20:21]                                   // 00000000C094: BEFE0114
	global_atomic_add_f32 v6, v89, s[8:9]                      // 00000000C098: DD348000 00085906
	s_mov_b64 exec, s[36:37]                                   // 00000000C0A0: BEFE0124
	v_mov_b32_e32 v6, v68                                      // 00000000C0A4: 7E0C0344
	s_mov_b64 s[60:61], 0                                      // 00000000C0A8: BEBC0180
	v_readlane_b32 s82, v3, 12                                 // 00000000C0AC: D2890052 00011903
	s_and_b32 s82, s82, 0xffffff                               // 00000000C0B4: 8652FF52 00FFFFFF
	s_cmp_lt_u32 s82, s66                                      // 00000000C0BC: BF0A4252
	s_cselect_b32 s20, s36, s60                                // 00000000C0C0: 85143C24
	v_readlane_b32 s82, v3, 13                                 // 00000000C0C4: D2890052 00011B03
	s_and_b32 s82, s82, 0xffffff                               // 00000000C0CC: 8652FF52 00FFFFFF
	s_cmp_lt_u32 s82, s66                                      // 00000000C0D4: BF0A4252
	s_cselect_b32 s21, s36, s60                                // 00000000C0D8: 85153C24
	s_mov_b64 exec, s[20:21]                                   // 00000000C0DC: BEFE0114
	global_atomic_add_f32 v6, v92, s[8:9]                      // 00000000C0E0: DD348000 00085C06
	s_mov_b64 exec, s[36:37]                                   // 00000000C0E8: BEFE0124
	v_mov_b32_e32 v6, v69                                      // 00000000C0EC: 7E0C0345
	s_mov_b64 s[60:61], 0                                      // 00000000C0F0: BEBC0180
	v_readlane_b32 s82, v3, 14                                 // 00000000C0F4: D2890052 00011D03
	s_and_b32 s82, s82, 0xffffff                               // 00000000C0FC: 8652FF52 00FFFFFF
	s_cmp_lt_u32 s82, s66                                      // 00000000C104: BF0A4252
	s_cselect_b32 s20, s36, s60                                // 00000000C108: 85143C24
	v_readlane_b32 s82, v3, 15                                 // 00000000C10C: D2890052 00011F03
	s_and_b32 s82, s82, 0xffffff                               // 00000000C114: 8652FF52 00FFFFFF
	s_cmp_lt_u32 s82, s66                                      // 00000000C11C: BF0A4252
	s_cselect_b32 s21, s36, s60                                // 00000000C120: 85153C24
	s_mov_b64 exec, s[20:21]                                   // 00000000C124: BEFE0114
	global_atomic_add_f32 v6, v93, s[8:9]                      // 00000000C128: DD348000 00085D06
	s_mov_b64 exec, s[36:37]                                   // 00000000C130: BEFE0124
	v_mov_b32_e32 v6, v70                                      // 00000000C134: 7E0C0346
	s_mov_b64 s[60:61], 0                                      // 00000000C138: BEBC0180
	v_readlane_b32 s82, v3, 16                                 // 00000000C13C: D2890052 00012103
	s_and_b32 s82, s82, 0xffffff                               // 00000000C144: 8652FF52 00FFFFFF
	s_cmp_lt_u32 s82, s66                                      // 00000000C14C: BF0A4252
	s_cselect_b32 s20, s36, s60                                // 00000000C150: 85143C24
	v_readlane_b32 s82, v3, 17                                 // 00000000C154: D2890052 00012303
	s_and_b32 s82, s82, 0xffffff                               // 00000000C15C: 8652FF52 00FFFFFF
	s_cmp_lt_u32 s82, s66                                      // 00000000C164: BF0A4252
	s_cselect_b32 s21, s36, s60                                // 00000000C168: 85153C24
	s_mov_b64 exec, s[20:21]                                   // 00000000C16C: BEFE0114
	global_atomic_add_f32 v6, v96, s[8:9]                      // 00000000C170: DD348000 00086006
	s_mov_b64 exec, s[36:37]                                   // 00000000C178: BEFE0124
	v_mov_b32_e32 v6, v71                                      // 00000000C17C: 7E0C0347
	s_mov_b64 s[60:61], 0                                      // 00000000C180: BEBC0180
	v_readlane_b32 s82, v3, 18                                 // 00000000C184: D2890052 00012503
	s_and_b32 s82, s82, 0xffffff                               // 00000000C18C: 8652FF52 00FFFFFF
	s_cmp_lt_u32 s82, s66                                      // 00000000C194: BF0A4252
	s_cselect_b32 s20, s36, s60                                // 00000000C198: 85143C24
	v_readlane_b32 s82, v3, 19                                 // 00000000C19C: D2890052 00012703
	s_and_b32 s82, s82, 0xffffff                               // 00000000C1A4: 8652FF52 00FFFFFF
	s_cmp_lt_u32 s82, s66                                      // 00000000C1AC: BF0A4252
	s_cselect_b32 s21, s36, s60                                // 00000000C1B0: 85153C24
	s_mov_b64 exec, s[20:21]                                   // 00000000C1B4: BEFE0114
	global_atomic_add_f32 v6, v97, s[8:9]                      // 00000000C1B8: DD348000 00086106
	s_mov_b64 exec, s[36:37]                                   // 00000000C1C0: BEFE0124
	v_mov_b32_e32 v6, v72                                      // 00000000C1C4: 7E0C0348
	s_mov_b64 s[60:61], 0                                      // 00000000C1C8: BEBC0180
	v_readlane_b32 s82, v3, 20                                 // 00000000C1CC: D2890052 00012903
	s_and_b32 s82, s82, 0xffffff                               // 00000000C1D4: 8652FF52 00FFFFFF
	s_cmp_lt_u32 s82, s66                                      // 00000000C1DC: BF0A4252
	s_cselect_b32 s20, s36, s60                                // 00000000C1E0: 85143C24
	v_readlane_b32 s82, v3, 21                                 // 00000000C1E4: D2890052 00012B03
	s_and_b32 s82, s82, 0xffffff                               // 00000000C1EC: 8652FF52 00FFFFFF
	s_cmp_lt_u32 s82, s66                                      // 00000000C1F4: BF0A4252
	s_cselect_b32 s21, s36, s60                                // 00000000C1F8: 85153C24
	s_mov_b64 exec, s[20:21]                                   // 00000000C1FC: BEFE0114
	global_atomic_add_f32 v6, v100, s[8:9]                     // 00000000C200: DD348000 00086406
	s_mov_b64 exec, s[36:37]                                   // 00000000C208: BEFE0124
	v_mov_b32_e32 v6, v73                                      // 00000000C20C: 7E0C0349
	s_mov_b64 s[60:61], 0                                      // 00000000C210: BEBC0180
	v_readlane_b32 s82, v3, 22                                 // 00000000C214: D2890052 00012D03
	s_and_b32 s82, s82, 0xffffff                               // 00000000C21C: 8652FF52 00FFFFFF
	s_cmp_lt_u32 s82, s66                                      // 00000000C224: BF0A4252
	s_cselect_b32 s20, s36, s60                                // 00000000C228: 85143C24
	v_readlane_b32 s82, v3, 23                                 // 00000000C22C: D2890052 00012F03
	s_and_b32 s82, s82, 0xffffff                               // 00000000C234: 8652FF52 00FFFFFF
	s_cmp_lt_u32 s82, s66                                      // 00000000C23C: BF0A4252
	s_cselect_b32 s21, s36, s60                                // 00000000C240: 85153C24
	s_mov_b64 exec, s[20:21]                                   // 00000000C244: BEFE0114
	global_atomic_add_f32 v6, v101, s[8:9]                     // 00000000C248: DD348000 00086506
	s_mov_b64 exec, s[36:37]                                   // 00000000C250: BEFE0124
	v_mov_b32_e32 v6, v74                                      // 00000000C254: 7E0C034A
	s_mov_b64 s[60:61], 0                                      // 00000000C258: BEBC0180
	v_readlane_b32 s82, v3, 24                                 // 00000000C25C: D2890052 00013103
	s_and_b32 s82, s82, 0xffffff                               // 00000000C264: 8652FF52 00FFFFFF
	s_cmp_lt_u32 s82, s66                                      // 00000000C26C: BF0A4252
	s_cselect_b32 s20, s36, s60                                // 00000000C270: 85143C24
	v_readlane_b32 s82, v3, 25                                 // 00000000C274: D2890052 00013303
	s_and_b32 s82, s82, 0xffffff                               // 00000000C27C: 8652FF52 00FFFFFF
	s_cmp_lt_u32 s82, s66                                      // 00000000C284: BF0A4252
	s_cselect_b32 s21, s36, s60                                // 00000000C288: 85153C24
	s_mov_b64 exec, s[20:21]                                   // 00000000C28C: BEFE0114
	global_atomic_add_f32 v6, v104, s[8:9]                     // 00000000C290: DD348000 00086806
	s_mov_b64 exec, s[36:37]                                   // 00000000C298: BEFE0124
	v_mov_b32_e32 v6, v75                                      // 00000000C29C: 7E0C034B
	s_mov_b64 s[60:61], 0                                      // 00000000C2A0: BEBC0180
	v_readlane_b32 s82, v3, 26                                 // 00000000C2A4: D2890052 00013503
	s_and_b32 s82, s82, 0xffffff                               // 00000000C2AC: 8652FF52 00FFFFFF
	s_cmp_lt_u32 s82, s66                                      // 00000000C2B4: BF0A4252
	s_cselect_b32 s20, s36, s60                                // 00000000C2B8: 85143C24
	v_readlane_b32 s82, v3, 27                                 // 00000000C2BC: D2890052 00013703
	s_and_b32 s82, s82, 0xffffff                               // 00000000C2C4: 8652FF52 00FFFFFF
	s_cmp_lt_u32 s82, s66                                      // 00000000C2CC: BF0A4252
	s_cselect_b32 s21, s36, s60                                // 00000000C2D0: 85153C24
	s_mov_b64 exec, s[20:21]                                   // 00000000C2D4: BEFE0114
	global_atomic_add_f32 v6, v105, s[8:9]                     // 00000000C2D8: DD348000 00086906
	s_mov_b64 exec, s[36:37]                                   // 00000000C2E0: BEFE0124
	v_mov_b32_e32 v6, v76                                      // 00000000C2E4: 7E0C034C
	s_mov_b64 s[60:61], 0                                      // 00000000C2E8: BEBC0180
	v_readlane_b32 s82, v3, 28                                 // 00000000C2EC: D2890052 00013903
	s_and_b32 s82, s82, 0xffffff                               // 00000000C2F4: 8652FF52 00FFFFFF
	s_cmp_lt_u32 s82, s66                                      // 00000000C2FC: BF0A4252
	s_cselect_b32 s20, s36, s60                                // 00000000C300: 85143C24
	v_readlane_b32 s82, v3, 29                                 // 00000000C304: D2890052 00013B03
	s_and_b32 s82, s82, 0xffffff                               // 00000000C30C: 8652FF52 00FFFFFF
	s_cmp_lt_u32 s82, s66                                      // 00000000C314: BF0A4252
	s_cselect_b32 s21, s36, s60                                // 00000000C318: 85153C24
	s_mov_b64 exec, s[20:21]                                   // 00000000C31C: BEFE0114
	global_atomic_add_f32 v6, v108, s[8:9]                     // 00000000C320: DD348000 00086C06
	s_mov_b64 exec, s[36:37]                                   // 00000000C328: BEFE0124
	v_mov_b32_e32 v6, v77                                      // 00000000C32C: 7E0C034D
	s_mov_b64 s[60:61], 0                                      // 00000000C330: BEBC0180
	v_readlane_b32 s82, v3, 30                                 // 00000000C334: D2890052 00013D03
	s_and_b32 s82, s82, 0xffffff                               // 00000000C33C: 8652FF52 00FFFFFF
	s_cmp_lt_u32 s82, s66                                      // 00000000C344: BF0A4252
	s_cselect_b32 s20, s36, s60                                // 00000000C348: 85143C24
	v_readlane_b32 s82, v3, 31                                 // 00000000C34C: D2890052 00013F03
	s_and_b32 s82, s82, 0xffffff                               // 00000000C354: 8652FF52 00FFFFFF
	s_cmp_lt_u32 s82, s66                                      // 00000000C35C: BF0A4252
	s_cselect_b32 s21, s36, s60                                // 00000000C360: 85153C24
	s_mov_b64 exec, s[20:21]                                   // 00000000C364: BEFE0114
	global_atomic_add_f32 v6, v109, s[8:9]                     // 00000000C368: DD348000 00086D06
	s_mov_b64 exec, s[36:37]                                   // 00000000C370: BEFE0124
	ds_write_b64 v20, v[82:83]                                 // 00000000C374: D89A0000 00005214
	ds_write_b64 v20, v[86:87] offset:2176                     // 00000000C37C: D89A0880 00005614
	ds_write_b64 v20, v[90:91] offset:4352                     // 00000000C384: D89A1100 00005A14
	ds_write_b64 v20, v[94:95] offset:6528                     // 00000000C38C: D89A1980 00005E14
	ds_write_b64 v20, v[98:99] offset:8704                     // 00000000C394: D89A2200 00006214
	ds_write_b64 v20, v[102:103] offset:10880                  // 00000000C39C: D89A2A80 00006614
	ds_write_b64 v20, v[106:107] offset:13056                  // 00000000C3A4: D89A3300 00006A14
	ds_write_b64 v20, v[110:111] offset:15232                  // 00000000C3AC: D89A3B80 00006E14
	s_waitcnt lgkmcnt(0)                                       // 00000000C3B4: BF8CC07F
	s_barrier                                                  // 00000000C3B8: BF8A0000
	ds_read_b32 v82, v21                                       // 00000000C3BC: D86C0000 52000015
	ds_read_b32 v83, v21 offset:64                             // 00000000C3C4: D86C0040 53000015
	ds_read_b32 v86, v21 offset:2176                           // 00000000C3CC: D86C0880 56000015
	ds_read_b32 v87, v21 offset:2240                           // 00000000C3D4: D86C08C0 57000015
	ds_read_b32 v90, v21 offset:4352                           // 00000000C3DC: D86C1100 5A000015
	ds_read_b32 v91, v21 offset:4416                           // 00000000C3E4: D86C1140 5B000015
	ds_read_b32 v94, v21 offset:6528                           // 00000000C3EC: D86C1980 5E000015
	ds_read_b32 v95, v21 offset:6592                           // 00000000C3F4: D86C19C0 5F000015
	ds_read_b32 v98, v21 offset:8704                           // 00000000C3FC: D86C2200 62000015
	ds_read_b32 v99, v21 offset:8768                           // 00000000C404: D86C2240 63000015
	ds_read_b32 v102, v21 offset:10880                         // 00000000C40C: D86C2A80 66000015
	ds_read_b32 v103, v21 offset:10944                         // 00000000C414: D86C2AC0 67000015
	ds_read_b32 v106, v21 offset:13056                         // 00000000C41C: D86C3300 6A000015
	ds_read_b32 v107, v21 offset:13120                         // 00000000C424: D86C3340 6B000015
	ds_read_b32 v110, v21 offset:15232                         // 00000000C42C: D86C3B80 6E000015
	ds_read_b32 v111, v21 offset:15296                         // 00000000C434: D86C3BC0 6F000015
	s_waitcnt lgkmcnt(0)                                       // 00000000C43C: BF8CC07F
	v_mov_b32_e32 v7, 0                                        // 00000000C440: 7E0E0280
	s_mov_b64 exec, s[36:37]                                   // 00000000C444: BEFE0124
	v_mov_b32_e32 v6, v62                                      // 00000000C448: 7E0C033E
	s_mov_b64 s[60:61], 0                                      // 00000000C44C: BEBC0180
	v_readlane_b32 s82, v3, 0                                  // 00000000C450: D2890052 00010103
	s_and_b32 s82, s82, 0xffffff                               // 00000000C458: 8652FF52 00FFFFFF
	s_cmp_lt_u32 s82, s66                                      // 00000000C460: BF0A4252
	s_cselect_b32 s20, s36, s60                                // 00000000C464: 85143C24
	v_readlane_b32 s82, v3, 1                                  // 00000000C468: D2890052 00010303
	s_and_b32 s82, s82, 0xffffff                               // 00000000C470: 8652FF52 00FFFFFF
	s_cmp_lt_u32 s82, s66                                      // 00000000C478: BF0A4252
	s_cselect_b32 s21, s36, s60                                // 00000000C47C: 85153C24
	s_mov_b64 exec, s[20:21]                                   // 00000000C480: BEFE0114
	global_atomic_add_f32 v6, v82, s[8:9] offset:8             // 00000000C484: DD348008 00085206
	s_mov_b64 exec, s[36:37]                                   // 00000000C48C: BEFE0124
	v_mov_b32_e32 v6, v63                                      // 00000000C490: 7E0C033F
	s_mov_b64 s[60:61], 0                                      // 00000000C494: BEBC0180
	v_readlane_b32 s82, v3, 2                                  // 00000000C498: D2890052 00010503
	s_and_b32 s82, s82, 0xffffff                               // 00000000C4A0: 8652FF52 00FFFFFF
	s_cmp_lt_u32 s82, s66                                      // 00000000C4A8: BF0A4252
	s_cselect_b32 s20, s36, s60                                // 00000000C4AC: 85143C24
	v_readlane_b32 s82, v3, 3                                  // 00000000C4B0: D2890052 00010703
	s_and_b32 s82, s82, 0xffffff                               // 00000000C4B8: 8652FF52 00FFFFFF
	s_cmp_lt_u32 s82, s66                                      // 00000000C4C0: BF0A4252
	s_cselect_b32 s21, s36, s60                                // 00000000C4C4: 85153C24
	s_mov_b64 exec, s[20:21]                                   // 00000000C4C8: BEFE0114
	global_atomic_add_f32 v6, v83, s[8:9] offset:8             // 00000000C4CC: DD348008 00085306
	s_mov_b64 exec, s[36:37]                                   // 00000000C4D4: BEFE0124
	v_mov_b32_e32 v6, v64                                      // 00000000C4D8: 7E0C0340
	s_mov_b64 s[60:61], 0                                      // 00000000C4DC: BEBC0180
	v_readlane_b32 s82, v3, 4                                  // 00000000C4E0: D2890052 00010903
	s_and_b32 s82, s82, 0xffffff                               // 00000000C4E8: 8652FF52 00FFFFFF
	s_cmp_lt_u32 s82, s66                                      // 00000000C4F0: BF0A4252
	s_cselect_b32 s20, s36, s60                                // 00000000C4F4: 85143C24
	v_readlane_b32 s82, v3, 5                                  // 00000000C4F8: D2890052 00010B03
	s_and_b32 s82, s82, 0xffffff                               // 00000000C500: 8652FF52 00FFFFFF
	s_cmp_lt_u32 s82, s66                                      // 00000000C508: BF0A4252
	s_cselect_b32 s21, s36, s60                                // 00000000C50C: 85153C24
	s_mov_b64 exec, s[20:21]                                   // 00000000C510: BEFE0114
	global_atomic_add_f32 v6, v86, s[8:9] offset:8             // 00000000C514: DD348008 00085606
	s_mov_b64 exec, s[36:37]                                   // 00000000C51C: BEFE0124
	v_mov_b32_e32 v6, v65                                      // 00000000C520: 7E0C0341
	s_mov_b64 s[60:61], 0                                      // 00000000C524: BEBC0180
	v_readlane_b32 s82, v3, 6                                  // 00000000C528: D2890052 00010D03
	s_and_b32 s82, s82, 0xffffff                               // 00000000C530: 8652FF52 00FFFFFF
	s_cmp_lt_u32 s82, s66                                      // 00000000C538: BF0A4252
	s_cselect_b32 s20, s36, s60                                // 00000000C53C: 85143C24
	v_readlane_b32 s82, v3, 7                                  // 00000000C540: D2890052 00010F03
	s_and_b32 s82, s82, 0xffffff                               // 00000000C548: 8652FF52 00FFFFFF
	s_cmp_lt_u32 s82, s66                                      // 00000000C550: BF0A4252
	s_cselect_b32 s21, s36, s60                                // 00000000C554: 85153C24
	s_mov_b64 exec, s[20:21]                                   // 00000000C558: BEFE0114
	global_atomic_add_f32 v6, v87, s[8:9] offset:8             // 00000000C55C: DD348008 00085706
	s_mov_b64 exec, s[36:37]                                   // 00000000C564: BEFE0124
	v_mov_b32_e32 v6, v66                                      // 00000000C568: 7E0C0342
	s_mov_b64 s[60:61], 0                                      // 00000000C56C: BEBC0180
	v_readlane_b32 s82, v3, 8                                  // 00000000C570: D2890052 00011103
	s_and_b32 s82, s82, 0xffffff                               // 00000000C578: 8652FF52 00FFFFFF
	s_cmp_lt_u32 s82, s66                                      // 00000000C580: BF0A4252
	s_cselect_b32 s20, s36, s60                                // 00000000C584: 85143C24
	v_readlane_b32 s82, v3, 9                                  // 00000000C588: D2890052 00011303
	s_and_b32 s82, s82, 0xffffff                               // 00000000C590: 8652FF52 00FFFFFF
	s_cmp_lt_u32 s82, s66                                      // 00000000C598: BF0A4252
	s_cselect_b32 s21, s36, s60                                // 00000000C59C: 85153C24
	s_mov_b64 exec, s[20:21]                                   // 00000000C5A0: BEFE0114
	global_atomic_add_f32 v6, v90, s[8:9] offset:8             // 00000000C5A4: DD348008 00085A06
	s_mov_b64 exec, s[36:37]                                   // 00000000C5AC: BEFE0124
	v_mov_b32_e32 v6, v67                                      // 00000000C5B0: 7E0C0343
	s_mov_b64 s[60:61], 0                                      // 00000000C5B4: BEBC0180
	v_readlane_b32 s82, v3, 10                                 // 00000000C5B8: D2890052 00011503
	s_and_b32 s82, s82, 0xffffff                               // 00000000C5C0: 8652FF52 00FFFFFF
	s_cmp_lt_u32 s82, s66                                      // 00000000C5C8: BF0A4252
	s_cselect_b32 s20, s36, s60                                // 00000000C5CC: 85143C24
	v_readlane_b32 s82, v3, 11                                 // 00000000C5D0: D2890052 00011703
	s_and_b32 s82, s82, 0xffffff                               // 00000000C5D8: 8652FF52 00FFFFFF
	s_cmp_lt_u32 s82, s66                                      // 00000000C5E0: BF0A4252
	s_cselect_b32 s21, s36, s60                                // 00000000C5E4: 85153C24
	s_mov_b64 exec, s[20:21]                                   // 00000000C5E8: BEFE0114
	global_atomic_add_f32 v6, v91, s[8:9] offset:8             // 00000000C5EC: DD348008 00085B06
	s_mov_b64 exec, s[36:37]                                   // 00000000C5F4: BEFE0124
	v_mov_b32_e32 v6, v68                                      // 00000000C5F8: 7E0C0344
	s_mov_b64 s[60:61], 0                                      // 00000000C5FC: BEBC0180
	v_readlane_b32 s82, v3, 12                                 // 00000000C600: D2890052 00011903
	s_and_b32 s82, s82, 0xffffff                               // 00000000C608: 8652FF52 00FFFFFF
	s_cmp_lt_u32 s82, s66                                      // 00000000C610: BF0A4252
	s_cselect_b32 s20, s36, s60                                // 00000000C614: 85143C24
	v_readlane_b32 s82, v3, 13                                 // 00000000C618: D2890052 00011B03
	s_and_b32 s82, s82, 0xffffff                               // 00000000C620: 8652FF52 00FFFFFF
	s_cmp_lt_u32 s82, s66                                      // 00000000C628: BF0A4252
	s_cselect_b32 s21, s36, s60                                // 00000000C62C: 85153C24
	s_mov_b64 exec, s[20:21]                                   // 00000000C630: BEFE0114
	global_atomic_add_f32 v6, v94, s[8:9] offset:8             // 00000000C634: DD348008 00085E06
	s_mov_b64 exec, s[36:37]                                   // 00000000C63C: BEFE0124
	v_mov_b32_e32 v6, v69                                      // 00000000C640: 7E0C0345
	s_mov_b64 s[60:61], 0                                      // 00000000C644: BEBC0180
	v_readlane_b32 s82, v3, 14                                 // 00000000C648: D2890052 00011D03
	s_and_b32 s82, s82, 0xffffff                               // 00000000C650: 8652FF52 00FFFFFF
	s_cmp_lt_u32 s82, s66                                      // 00000000C658: BF0A4252
	s_cselect_b32 s20, s36, s60                                // 00000000C65C: 85143C24
	v_readlane_b32 s82, v3, 15                                 // 00000000C660: D2890052 00011F03
	s_and_b32 s82, s82, 0xffffff                               // 00000000C668: 8652FF52 00FFFFFF
	s_cmp_lt_u32 s82, s66                                      // 00000000C670: BF0A4252
	s_cselect_b32 s21, s36, s60                                // 00000000C674: 85153C24
	s_mov_b64 exec, s[20:21]                                   // 00000000C678: BEFE0114
	global_atomic_add_f32 v6, v95, s[8:9] offset:8             // 00000000C67C: DD348008 00085F06
	s_mov_b64 exec, s[36:37]                                   // 00000000C684: BEFE0124
	v_mov_b32_e32 v6, v70                                      // 00000000C688: 7E0C0346
	s_mov_b64 s[60:61], 0                                      // 00000000C68C: BEBC0180
	v_readlane_b32 s82, v3, 16                                 // 00000000C690: D2890052 00012103
	s_and_b32 s82, s82, 0xffffff                               // 00000000C698: 8652FF52 00FFFFFF
	s_cmp_lt_u32 s82, s66                                      // 00000000C6A0: BF0A4252
	s_cselect_b32 s20, s36, s60                                // 00000000C6A4: 85143C24
	v_readlane_b32 s82, v3, 17                                 // 00000000C6A8: D2890052 00012303
	s_and_b32 s82, s82, 0xffffff                               // 00000000C6B0: 8652FF52 00FFFFFF
	s_cmp_lt_u32 s82, s66                                      // 00000000C6B8: BF0A4252
	s_cselect_b32 s21, s36, s60                                // 00000000C6BC: 85153C24
	s_mov_b64 exec, s[20:21]                                   // 00000000C6C0: BEFE0114
	global_atomic_add_f32 v6, v98, s[8:9] offset:8             // 00000000C6C4: DD348008 00086206
	s_mov_b64 exec, s[36:37]                                   // 00000000C6CC: BEFE0124
	v_mov_b32_e32 v6, v71                                      // 00000000C6D0: 7E0C0347
	s_mov_b64 s[60:61], 0                                      // 00000000C6D4: BEBC0180
	v_readlane_b32 s82, v3, 18                                 // 00000000C6D8: D2890052 00012503
	s_and_b32 s82, s82, 0xffffff                               // 00000000C6E0: 8652FF52 00FFFFFF
	s_cmp_lt_u32 s82, s66                                      // 00000000C6E8: BF0A4252
	s_cselect_b32 s20, s36, s60                                // 00000000C6EC: 85143C24
	v_readlane_b32 s82, v3, 19                                 // 00000000C6F0: D2890052 00012703
	s_and_b32 s82, s82, 0xffffff                               // 00000000C6F8: 8652FF52 00FFFFFF
	s_cmp_lt_u32 s82, s66                                      // 00000000C700: BF0A4252
	s_cselect_b32 s21, s36, s60                                // 00000000C704: 85153C24
	s_mov_b64 exec, s[20:21]                                   // 00000000C708: BEFE0114
	global_atomic_add_f32 v6, v99, s[8:9] offset:8             // 00000000C70C: DD348008 00086306
	s_mov_b64 exec, s[36:37]                                   // 00000000C714: BEFE0124
	v_mov_b32_e32 v6, v72                                      // 00000000C718: 7E0C0348
	s_mov_b64 s[60:61], 0                                      // 00000000C71C: BEBC0180
	v_readlane_b32 s82, v3, 20                                 // 00000000C720: D2890052 00012903
	s_and_b32 s82, s82, 0xffffff                               // 00000000C728: 8652FF52 00FFFFFF
	s_cmp_lt_u32 s82, s66                                      // 00000000C730: BF0A4252
	s_cselect_b32 s20, s36, s60                                // 00000000C734: 85143C24
	v_readlane_b32 s82, v3, 21                                 // 00000000C738: D2890052 00012B03
	s_and_b32 s82, s82, 0xffffff                               // 00000000C740: 8652FF52 00FFFFFF
	s_cmp_lt_u32 s82, s66                                      // 00000000C748: BF0A4252
	s_cselect_b32 s21, s36, s60                                // 00000000C74C: 85153C24
	s_mov_b64 exec, s[20:21]                                   // 00000000C750: BEFE0114
	global_atomic_add_f32 v6, v102, s[8:9] offset:8            // 00000000C754: DD348008 00086606
	s_mov_b64 exec, s[36:37]                                   // 00000000C75C: BEFE0124
	v_mov_b32_e32 v6, v73                                      // 00000000C760: 7E0C0349
	s_mov_b64 s[60:61], 0                                      // 00000000C764: BEBC0180
	v_readlane_b32 s82, v3, 22                                 // 00000000C768: D2890052 00012D03
	s_and_b32 s82, s82, 0xffffff                               // 00000000C770: 8652FF52 00FFFFFF
	s_cmp_lt_u32 s82, s66                                      // 00000000C778: BF0A4252
	s_cselect_b32 s20, s36, s60                                // 00000000C77C: 85143C24
	v_readlane_b32 s82, v3, 23                                 // 00000000C780: D2890052 00012F03
	s_and_b32 s82, s82, 0xffffff                               // 00000000C788: 8652FF52 00FFFFFF
	s_cmp_lt_u32 s82, s66                                      // 00000000C790: BF0A4252
	s_cselect_b32 s21, s36, s60                                // 00000000C794: 85153C24
	s_mov_b64 exec, s[20:21]                                   // 00000000C798: BEFE0114
	global_atomic_add_f32 v6, v103, s[8:9] offset:8            // 00000000C79C: DD348008 00086706
	s_mov_b64 exec, s[36:37]                                   // 00000000C7A4: BEFE0124
	v_mov_b32_e32 v6, v74                                      // 00000000C7A8: 7E0C034A
	s_mov_b64 s[60:61], 0                                      // 00000000C7AC: BEBC0180
	v_readlane_b32 s82, v3, 24                                 // 00000000C7B0: D2890052 00013103
	s_and_b32 s82, s82, 0xffffff                               // 00000000C7B8: 8652FF52 00FFFFFF
	s_cmp_lt_u32 s82, s66                                      // 00000000C7C0: BF0A4252
	s_cselect_b32 s20, s36, s60                                // 00000000C7C4: 85143C24
	v_readlane_b32 s82, v3, 25                                 // 00000000C7C8: D2890052 00013303
	s_and_b32 s82, s82, 0xffffff                               // 00000000C7D0: 8652FF52 00FFFFFF
	s_cmp_lt_u32 s82, s66                                      // 00000000C7D8: BF0A4252
	s_cselect_b32 s21, s36, s60                                // 00000000C7DC: 85153C24
	s_mov_b64 exec, s[20:21]                                   // 00000000C7E0: BEFE0114
	global_atomic_add_f32 v6, v106, s[8:9] offset:8            // 00000000C7E4: DD348008 00086A06
	s_mov_b64 exec, s[36:37]                                   // 00000000C7EC: BEFE0124
	v_mov_b32_e32 v6, v75                                      // 00000000C7F0: 7E0C034B
	s_mov_b64 s[60:61], 0                                      // 00000000C7F4: BEBC0180
	v_readlane_b32 s82, v3, 26                                 // 00000000C7F8: D2890052 00013503
	s_and_b32 s82, s82, 0xffffff                               // 00000000C800: 8652FF52 00FFFFFF
	s_cmp_lt_u32 s82, s66                                      // 00000000C808: BF0A4252
	s_cselect_b32 s20, s36, s60                                // 00000000C80C: 85143C24
	v_readlane_b32 s82, v3, 27                                 // 00000000C810: D2890052 00013703
	s_and_b32 s82, s82, 0xffffff                               // 00000000C818: 8652FF52 00FFFFFF
	s_cmp_lt_u32 s82, s66                                      // 00000000C820: BF0A4252
	s_cselect_b32 s21, s36, s60                                // 00000000C824: 85153C24
	s_mov_b64 exec, s[20:21]                                   // 00000000C828: BEFE0114
	global_atomic_add_f32 v6, v107, s[8:9] offset:8            // 00000000C82C: DD348008 00086B06
	s_mov_b64 exec, s[36:37]                                   // 00000000C834: BEFE0124
	v_mov_b32_e32 v6, v76                                      // 00000000C838: 7E0C034C
	s_mov_b64 s[60:61], 0                                      // 00000000C83C: BEBC0180
	v_readlane_b32 s82, v3, 28                                 // 00000000C840: D2890052 00013903
	s_and_b32 s82, s82, 0xffffff                               // 00000000C848: 8652FF52 00FFFFFF
	s_cmp_lt_u32 s82, s66                                      // 00000000C850: BF0A4252
	s_cselect_b32 s20, s36, s60                                // 00000000C854: 85143C24
	v_readlane_b32 s82, v3, 29                                 // 00000000C858: D2890052 00013B03
	s_and_b32 s82, s82, 0xffffff                               // 00000000C860: 8652FF52 00FFFFFF
	s_cmp_lt_u32 s82, s66                                      // 00000000C868: BF0A4252
	s_cselect_b32 s21, s36, s60                                // 00000000C86C: 85153C24
	s_mov_b64 exec, s[20:21]                                   // 00000000C870: BEFE0114
	global_atomic_add_f32 v6, v110, s[8:9] offset:8            // 00000000C874: DD348008 00086E06
	s_mov_b64 exec, s[36:37]                                   // 00000000C87C: BEFE0124
	v_mov_b32_e32 v6, v77                                      // 00000000C880: 7E0C034D
	s_mov_b64 s[60:61], 0                                      // 00000000C884: BEBC0180
	v_readlane_b32 s82, v3, 30                                 // 00000000C888: D2890052 00013D03
	s_and_b32 s82, s82, 0xffffff                               // 00000000C890: 8652FF52 00FFFFFF
	s_cmp_lt_u32 s82, s66                                      // 00000000C898: BF0A4252
	s_cselect_b32 s20, s36, s60                                // 00000000C89C: 85143C24
	v_readlane_b32 s82, v3, 31                                 // 00000000C8A0: D2890052 00013F03
	s_and_b32 s82, s82, 0xffffff                               // 00000000C8A8: 8652FF52 00FFFFFF
	s_cmp_lt_u32 s82, s66                                      // 00000000C8B0: BF0A4252
	s_cselect_b32 s21, s36, s60                                // 00000000C8B4: 85153C24
	s_mov_b64 exec, s[20:21]                                   // 00000000C8B8: BEFE0114
	global_atomic_add_f32 v6, v111, s[8:9] offset:8            // 00000000C8BC: DD348008 00086F06
	s_mov_b64 exec, s[36:37]                                   // 00000000C8C4: BEFE0124
	ds_write_b64 v20, v[112:113]                               // 00000000C8C8: D89A0000 00007014
	ds_write_b64 v20, v[116:117] offset:2176                   // 00000000C8D0: D89A0880 00007414
	ds_write_b64 v20, v[120:121] offset:4352                   // 00000000C8D8: D89A1100 00007814
	ds_write_b64 v20, v[124:125] offset:6528                   // 00000000C8E0: D89A1980 00007C14
	ds_write_b64 v20, v[128:129] offset:8704                   // 00000000C8E8: D89A2200 00008014
	ds_write_b64 v20, v[132:133] offset:10880                  // 00000000C8F0: D89A2A80 00008414
	ds_write_b64 v20, v[136:137] offset:13056                  // 00000000C8F8: D89A3300 00008814
	ds_write_b64 v20, v[140:141] offset:15232                  // 00000000C900: D89A3B80 00008C14
	s_waitcnt lgkmcnt(0)                                       // 00000000C908: BF8CC07F
	s_barrier                                                  // 00000000C90C: BF8A0000
	ds_read_b32 v112, v21                                      // 00000000C910: D86C0000 70000015
	ds_read_b32 v113, v21 offset:64                            // 00000000C918: D86C0040 71000015
	ds_read_b32 v116, v21 offset:2176                          // 00000000C920: D86C0880 74000015
	ds_read_b32 v117, v21 offset:2240                          // 00000000C928: D86C08C0 75000015
	ds_read_b32 v120, v21 offset:4352                          // 00000000C930: D86C1100 78000015
	ds_read_b32 v121, v21 offset:4416                          // 00000000C938: D86C1140 79000015
	ds_read_b32 v124, v21 offset:6528                          // 00000000C940: D86C1980 7C000015
	ds_read_b32 v125, v21 offset:6592                          // 00000000C948: D86C19C0 7D000015
	ds_read_b32 v128, v21 offset:8704                          // 00000000C950: D86C2200 80000015
	ds_read_b32 v129, v21 offset:8768                          // 00000000C958: D86C2240 81000015
	ds_read_b32 v132, v21 offset:10880                         // 00000000C960: D86C2A80 84000015
	ds_read_b32 v133, v21 offset:10944                         // 00000000C968: D86C2AC0 85000015
	ds_read_b32 v136, v21 offset:13056                         // 00000000C970: D86C3300 88000015
	ds_read_b32 v137, v21 offset:13120                         // 00000000C978: D86C3340 89000015
	ds_read_b32 v140, v21 offset:15232                         // 00000000C980: D86C3B80 8C000015
	ds_read_b32 v141, v21 offset:15296                         // 00000000C988: D86C3BC0 8D000015
	s_mul_i32 s60, s65, 4                                      // 00000000C990: 923C8441
	s_add_u32 s8, s60, s8                                      // 00000000C994: 8008083C
	s_addc_u32 s9, 0, s9                                       // 00000000C998: 82090980
	s_waitcnt lgkmcnt(0)                                       // 00000000C99C: BF8CC07F
	v_mov_b32_e32 v7, 0                                        // 00000000C9A0: 7E0E0280
	s_mov_b64 exec, s[36:37]                                   // 00000000C9A4: BEFE0124
	v_mov_b32_e32 v6, v62                                      // 00000000C9A8: 7E0C033E
	s_mov_b64 s[60:61], 0                                      // 00000000C9AC: BEBC0180
	v_readlane_b32 s82, v3, 0                                  // 00000000C9B0: D2890052 00010103
	s_and_b32 s82, s82, 0xffffff                               // 00000000C9B8: 8652FF52 00FFFFFF
	s_cmp_lt_u32 s82, s66                                      // 00000000C9C0: BF0A4252
	s_cselect_b32 s20, s36, s60                                // 00000000C9C4: 85143C24
	v_readlane_b32 s82, v3, 1                                  // 00000000C9C8: D2890052 00010303
	s_and_b32 s82, s82, 0xffffff                               // 00000000C9D0: 8652FF52 00FFFFFF
	s_cmp_lt_u32 s82, s66                                      // 00000000C9D8: BF0A4252
	s_cselect_b32 s21, s36, s60                                // 00000000C9DC: 85153C24
	s_mov_b64 exec, s[20:21]                                   // 00000000C9E0: BEFE0114
	global_atomic_add_f32 v6, v112, s[8:9]                     // 00000000C9E4: DD348000 00087006
	s_mov_b64 exec, s[36:37]                                   // 00000000C9EC: BEFE0124
	v_mov_b32_e32 v6, v63                                      // 00000000C9F0: 7E0C033F
	s_mov_b64 s[60:61], 0                                      // 00000000C9F4: BEBC0180
	v_readlane_b32 s82, v3, 2                                  // 00000000C9F8: D2890052 00010503
	s_and_b32 s82, s82, 0xffffff                               // 00000000CA00: 8652FF52 00FFFFFF
	s_cmp_lt_u32 s82, s66                                      // 00000000CA08: BF0A4252
	s_cselect_b32 s20, s36, s60                                // 00000000CA0C: 85143C24
	v_readlane_b32 s82, v3, 3                                  // 00000000CA10: D2890052 00010703
	s_and_b32 s82, s82, 0xffffff                               // 00000000CA18: 8652FF52 00FFFFFF
	s_cmp_lt_u32 s82, s66                                      // 00000000CA20: BF0A4252
	s_cselect_b32 s21, s36, s60                                // 00000000CA24: 85153C24
	s_mov_b64 exec, s[20:21]                                   // 00000000CA28: BEFE0114
	global_atomic_add_f32 v6, v113, s[8:9]                     // 00000000CA2C: DD348000 00087106
	s_mov_b64 exec, s[36:37]                                   // 00000000CA34: BEFE0124
	v_mov_b32_e32 v6, v64                                      // 00000000CA38: 7E0C0340
	s_mov_b64 s[60:61], 0                                      // 00000000CA3C: BEBC0180
	v_readlane_b32 s82, v3, 4                                  // 00000000CA40: D2890052 00010903
	s_and_b32 s82, s82, 0xffffff                               // 00000000CA48: 8652FF52 00FFFFFF
	s_cmp_lt_u32 s82, s66                                      // 00000000CA50: BF0A4252
	s_cselect_b32 s20, s36, s60                                // 00000000CA54: 85143C24
	v_readlane_b32 s82, v3, 5                                  // 00000000CA58: D2890052 00010B03
	s_and_b32 s82, s82, 0xffffff                               // 00000000CA60: 8652FF52 00FFFFFF
	s_cmp_lt_u32 s82, s66                                      // 00000000CA68: BF0A4252
	s_cselect_b32 s21, s36, s60                                // 00000000CA6C: 85153C24
	s_mov_b64 exec, s[20:21]                                   // 00000000CA70: BEFE0114
	global_atomic_add_f32 v6, v116, s[8:9]                     // 00000000CA74: DD348000 00087406
	s_mov_b64 exec, s[36:37]                                   // 00000000CA7C: BEFE0124
	v_mov_b32_e32 v6, v65                                      // 00000000CA80: 7E0C0341
	s_mov_b64 s[60:61], 0                                      // 00000000CA84: BEBC0180
	v_readlane_b32 s82, v3, 6                                  // 00000000CA88: D2890052 00010D03
	s_and_b32 s82, s82, 0xffffff                               // 00000000CA90: 8652FF52 00FFFFFF
	s_cmp_lt_u32 s82, s66                                      // 00000000CA98: BF0A4252
	s_cselect_b32 s20, s36, s60                                // 00000000CA9C: 85143C24
	v_readlane_b32 s82, v3, 7                                  // 00000000CAA0: D2890052 00010F03
	s_and_b32 s82, s82, 0xffffff                               // 00000000CAA8: 8652FF52 00FFFFFF
	s_cmp_lt_u32 s82, s66                                      // 00000000CAB0: BF0A4252
	s_cselect_b32 s21, s36, s60                                // 00000000CAB4: 85153C24
	s_mov_b64 exec, s[20:21]                                   // 00000000CAB8: BEFE0114
	global_atomic_add_f32 v6, v117, s[8:9]                     // 00000000CABC: DD348000 00087506
	s_mov_b64 exec, s[36:37]                                   // 00000000CAC4: BEFE0124
	v_mov_b32_e32 v6, v66                                      // 00000000CAC8: 7E0C0342
	s_mov_b64 s[60:61], 0                                      // 00000000CACC: BEBC0180
	v_readlane_b32 s82, v3, 8                                  // 00000000CAD0: D2890052 00011103
	s_and_b32 s82, s82, 0xffffff                               // 00000000CAD8: 8652FF52 00FFFFFF
	s_cmp_lt_u32 s82, s66                                      // 00000000CAE0: BF0A4252
	s_cselect_b32 s20, s36, s60                                // 00000000CAE4: 85143C24
	v_readlane_b32 s82, v3, 9                                  // 00000000CAE8: D2890052 00011303
	s_and_b32 s82, s82, 0xffffff                               // 00000000CAF0: 8652FF52 00FFFFFF
	s_cmp_lt_u32 s82, s66                                      // 00000000CAF8: BF0A4252
	s_cselect_b32 s21, s36, s60                                // 00000000CAFC: 85153C24
	s_mov_b64 exec, s[20:21]                                   // 00000000CB00: BEFE0114
	global_atomic_add_f32 v6, v120, s[8:9]                     // 00000000CB04: DD348000 00087806
	s_mov_b64 exec, s[36:37]                                   // 00000000CB0C: BEFE0124
	v_mov_b32_e32 v6, v67                                      // 00000000CB10: 7E0C0343
	s_mov_b64 s[60:61], 0                                      // 00000000CB14: BEBC0180
	v_readlane_b32 s82, v3, 10                                 // 00000000CB18: D2890052 00011503
	s_and_b32 s82, s82, 0xffffff                               // 00000000CB20: 8652FF52 00FFFFFF
	s_cmp_lt_u32 s82, s66                                      // 00000000CB28: BF0A4252
	s_cselect_b32 s20, s36, s60                                // 00000000CB2C: 85143C24
	v_readlane_b32 s82, v3, 11                                 // 00000000CB30: D2890052 00011703
	s_and_b32 s82, s82, 0xffffff                               // 00000000CB38: 8652FF52 00FFFFFF
	s_cmp_lt_u32 s82, s66                                      // 00000000CB40: BF0A4252
	s_cselect_b32 s21, s36, s60                                // 00000000CB44: 85153C24
	s_mov_b64 exec, s[20:21]                                   // 00000000CB48: BEFE0114
	global_atomic_add_f32 v6, v121, s[8:9]                     // 00000000CB4C: DD348000 00087906
	s_mov_b64 exec, s[36:37]                                   // 00000000CB54: BEFE0124
	v_mov_b32_e32 v6, v68                                      // 00000000CB58: 7E0C0344
	s_mov_b64 s[60:61], 0                                      // 00000000CB5C: BEBC0180
	v_readlane_b32 s82, v3, 12                                 // 00000000CB60: D2890052 00011903
	s_and_b32 s82, s82, 0xffffff                               // 00000000CB68: 8652FF52 00FFFFFF
	s_cmp_lt_u32 s82, s66                                      // 00000000CB70: BF0A4252
	s_cselect_b32 s20, s36, s60                                // 00000000CB74: 85143C24
	v_readlane_b32 s82, v3, 13                                 // 00000000CB78: D2890052 00011B03
	s_and_b32 s82, s82, 0xffffff                               // 00000000CB80: 8652FF52 00FFFFFF
	s_cmp_lt_u32 s82, s66                                      // 00000000CB88: BF0A4252
	s_cselect_b32 s21, s36, s60                                // 00000000CB8C: 85153C24
	s_mov_b64 exec, s[20:21]                                   // 00000000CB90: BEFE0114
	global_atomic_add_f32 v6, v124, s[8:9]                     // 00000000CB94: DD348000 00087C06
	s_mov_b64 exec, s[36:37]                                   // 00000000CB9C: BEFE0124
	v_mov_b32_e32 v6, v69                                      // 00000000CBA0: 7E0C0345
	s_mov_b64 s[60:61], 0                                      // 00000000CBA4: BEBC0180
	v_readlane_b32 s82, v3, 14                                 // 00000000CBA8: D2890052 00011D03
	s_and_b32 s82, s82, 0xffffff                               // 00000000CBB0: 8652FF52 00FFFFFF
	s_cmp_lt_u32 s82, s66                                      // 00000000CBB8: BF0A4252
	s_cselect_b32 s20, s36, s60                                // 00000000CBBC: 85143C24
	v_readlane_b32 s82, v3, 15                                 // 00000000CBC0: D2890052 00011F03
	s_and_b32 s82, s82, 0xffffff                               // 00000000CBC8: 8652FF52 00FFFFFF
	s_cmp_lt_u32 s82, s66                                      // 00000000CBD0: BF0A4252
	s_cselect_b32 s21, s36, s60                                // 00000000CBD4: 85153C24
	s_mov_b64 exec, s[20:21]                                   // 00000000CBD8: BEFE0114
	global_atomic_add_f32 v6, v125, s[8:9]                     // 00000000CBDC: DD348000 00087D06
	s_mov_b64 exec, s[36:37]                                   // 00000000CBE4: BEFE0124
	v_mov_b32_e32 v6, v70                                      // 00000000CBE8: 7E0C0346
	s_mov_b64 s[60:61], 0                                      // 00000000CBEC: BEBC0180
	v_readlane_b32 s82, v3, 16                                 // 00000000CBF0: D2890052 00012103
	s_and_b32 s82, s82, 0xffffff                               // 00000000CBF8: 8652FF52 00FFFFFF
	s_cmp_lt_u32 s82, s66                                      // 00000000CC00: BF0A4252
	s_cselect_b32 s20, s36, s60                                // 00000000CC04: 85143C24
	v_readlane_b32 s82, v3, 17                                 // 00000000CC08: D2890052 00012303
	s_and_b32 s82, s82, 0xffffff                               // 00000000CC10: 8652FF52 00FFFFFF
	s_cmp_lt_u32 s82, s66                                      // 00000000CC18: BF0A4252
	s_cselect_b32 s21, s36, s60                                // 00000000CC1C: 85153C24
	s_mov_b64 exec, s[20:21]                                   // 00000000CC20: BEFE0114
	global_atomic_add_f32 v6, v128, s[8:9]                     // 00000000CC24: DD348000 00088006
	s_mov_b64 exec, s[36:37]                                   // 00000000CC2C: BEFE0124
	v_mov_b32_e32 v6, v71                                      // 00000000CC30: 7E0C0347
	s_mov_b64 s[60:61], 0                                      // 00000000CC34: BEBC0180
	v_readlane_b32 s82, v3, 18                                 // 00000000CC38: D2890052 00012503
	s_and_b32 s82, s82, 0xffffff                               // 00000000CC40: 8652FF52 00FFFFFF
	s_cmp_lt_u32 s82, s66                                      // 00000000CC48: BF0A4252
	s_cselect_b32 s20, s36, s60                                // 00000000CC4C: 85143C24
	v_readlane_b32 s82, v3, 19                                 // 00000000CC50: D2890052 00012703
	s_and_b32 s82, s82, 0xffffff                               // 00000000CC58: 8652FF52 00FFFFFF
	s_cmp_lt_u32 s82, s66                                      // 00000000CC60: BF0A4252
	s_cselect_b32 s21, s36, s60                                // 00000000CC64: 85153C24
	s_mov_b64 exec, s[20:21]                                   // 00000000CC68: BEFE0114
	global_atomic_add_f32 v6, v129, s[8:9]                     // 00000000CC6C: DD348000 00088106
	s_mov_b64 exec, s[36:37]                                   // 00000000CC74: BEFE0124
	v_mov_b32_e32 v6, v72                                      // 00000000CC78: 7E0C0348
	s_mov_b64 s[60:61], 0                                      // 00000000CC7C: BEBC0180
	v_readlane_b32 s82, v3, 20                                 // 00000000CC80: D2890052 00012903
	s_and_b32 s82, s82, 0xffffff                               // 00000000CC88: 8652FF52 00FFFFFF
	s_cmp_lt_u32 s82, s66                                      // 00000000CC90: BF0A4252
	s_cselect_b32 s20, s36, s60                                // 00000000CC94: 85143C24
	v_readlane_b32 s82, v3, 21                                 // 00000000CC98: D2890052 00012B03
	s_and_b32 s82, s82, 0xffffff                               // 00000000CCA0: 8652FF52 00FFFFFF
	s_cmp_lt_u32 s82, s66                                      // 00000000CCA8: BF0A4252
	s_cselect_b32 s21, s36, s60                                // 00000000CCAC: 85153C24
	s_mov_b64 exec, s[20:21]                                   // 00000000CCB0: BEFE0114
	global_atomic_add_f32 v6, v132, s[8:9]                     // 00000000CCB4: DD348000 00088406
	s_mov_b64 exec, s[36:37]                                   // 00000000CCBC: BEFE0124
	v_mov_b32_e32 v6, v73                                      // 00000000CCC0: 7E0C0349
	s_mov_b64 s[60:61], 0                                      // 00000000CCC4: BEBC0180
	v_readlane_b32 s82, v3, 22                                 // 00000000CCC8: D2890052 00012D03
	s_and_b32 s82, s82, 0xffffff                               // 00000000CCD0: 8652FF52 00FFFFFF
	s_cmp_lt_u32 s82, s66                                      // 00000000CCD8: BF0A4252
	s_cselect_b32 s20, s36, s60                                // 00000000CCDC: 85143C24
	v_readlane_b32 s82, v3, 23                                 // 00000000CCE0: D2890052 00012F03
	s_and_b32 s82, s82, 0xffffff                               // 00000000CCE8: 8652FF52 00FFFFFF
	s_cmp_lt_u32 s82, s66                                      // 00000000CCF0: BF0A4252
	s_cselect_b32 s21, s36, s60                                // 00000000CCF4: 85153C24
	s_mov_b64 exec, s[20:21]                                   // 00000000CCF8: BEFE0114
	global_atomic_add_f32 v6, v133, s[8:9]                     // 00000000CCFC: DD348000 00088506
	s_mov_b64 exec, s[36:37]                                   // 00000000CD04: BEFE0124
	v_mov_b32_e32 v6, v74                                      // 00000000CD08: 7E0C034A
	s_mov_b64 s[60:61], 0                                      // 00000000CD0C: BEBC0180
	v_readlane_b32 s82, v3, 24                                 // 00000000CD10: D2890052 00013103
	s_and_b32 s82, s82, 0xffffff                               // 00000000CD18: 8652FF52 00FFFFFF
	s_cmp_lt_u32 s82, s66                                      // 00000000CD20: BF0A4252
	s_cselect_b32 s20, s36, s60                                // 00000000CD24: 85143C24
	v_readlane_b32 s82, v3, 25                                 // 00000000CD28: D2890052 00013303
	s_and_b32 s82, s82, 0xffffff                               // 00000000CD30: 8652FF52 00FFFFFF
	s_cmp_lt_u32 s82, s66                                      // 00000000CD38: BF0A4252
	s_cselect_b32 s21, s36, s60                                // 00000000CD3C: 85153C24
	s_mov_b64 exec, s[20:21]                                   // 00000000CD40: BEFE0114
	global_atomic_add_f32 v6, v136, s[8:9]                     // 00000000CD44: DD348000 00088806
	s_mov_b64 exec, s[36:37]                                   // 00000000CD4C: BEFE0124
	v_mov_b32_e32 v6, v75                                      // 00000000CD50: 7E0C034B
	s_mov_b64 s[60:61], 0                                      // 00000000CD54: BEBC0180
	v_readlane_b32 s82, v3, 26                                 // 00000000CD58: D2890052 00013503
	s_and_b32 s82, s82, 0xffffff                               // 00000000CD60: 8652FF52 00FFFFFF
	s_cmp_lt_u32 s82, s66                                      // 00000000CD68: BF0A4252
	s_cselect_b32 s20, s36, s60                                // 00000000CD6C: 85143C24
	v_readlane_b32 s82, v3, 27                                 // 00000000CD70: D2890052 00013703
	s_and_b32 s82, s82, 0xffffff                               // 00000000CD78: 8652FF52 00FFFFFF
	s_cmp_lt_u32 s82, s66                                      // 00000000CD80: BF0A4252
	s_cselect_b32 s21, s36, s60                                // 00000000CD84: 85153C24
	s_mov_b64 exec, s[20:21]                                   // 00000000CD88: BEFE0114
	global_atomic_add_f32 v6, v137, s[8:9]                     // 00000000CD8C: DD348000 00088906
	s_mov_b64 exec, s[36:37]                                   // 00000000CD94: BEFE0124
	v_mov_b32_e32 v6, v76                                      // 00000000CD98: 7E0C034C
	s_mov_b64 s[60:61], 0                                      // 00000000CD9C: BEBC0180
	v_readlane_b32 s82, v3, 28                                 // 00000000CDA0: D2890052 00013903
	s_and_b32 s82, s82, 0xffffff                               // 00000000CDA8: 8652FF52 00FFFFFF
	s_cmp_lt_u32 s82, s66                                      // 00000000CDB0: BF0A4252
	s_cselect_b32 s20, s36, s60                                // 00000000CDB4: 85143C24
	v_readlane_b32 s82, v3, 29                                 // 00000000CDB8: D2890052 00013B03
	s_and_b32 s82, s82, 0xffffff                               // 00000000CDC0: 8652FF52 00FFFFFF
	s_cmp_lt_u32 s82, s66                                      // 00000000CDC8: BF0A4252
	s_cselect_b32 s21, s36, s60                                // 00000000CDCC: 85153C24
	s_mov_b64 exec, s[20:21]                                   // 00000000CDD0: BEFE0114
	global_atomic_add_f32 v6, v140, s[8:9]                     // 00000000CDD4: DD348000 00088C06
	s_mov_b64 exec, s[36:37]                                   // 00000000CDDC: BEFE0124
	v_mov_b32_e32 v6, v77                                      // 00000000CDE0: 7E0C034D
	s_mov_b64 s[60:61], 0                                      // 00000000CDE4: BEBC0180
	v_readlane_b32 s82, v3, 30                                 // 00000000CDE8: D2890052 00013D03
	s_and_b32 s82, s82, 0xffffff                               // 00000000CDF0: 8652FF52 00FFFFFF
	s_cmp_lt_u32 s82, s66                                      // 00000000CDF8: BF0A4252
	s_cselect_b32 s20, s36, s60                                // 00000000CDFC: 85143C24
	v_readlane_b32 s82, v3, 31                                 // 00000000CE00: D2890052 00013F03
	s_and_b32 s82, s82, 0xffffff                               // 00000000CE08: 8652FF52 00FFFFFF
	s_cmp_lt_u32 s82, s66                                      // 00000000CE10: BF0A4252
	s_cselect_b32 s21, s36, s60                                // 00000000CE14: 85153C24
	s_mov_b64 exec, s[20:21]                                   // 00000000CE18: BEFE0114
	global_atomic_add_f32 v6, v141, s[8:9]                     // 00000000CE1C: DD348000 00088D06
	s_mov_b64 exec, s[36:37]                                   // 00000000CE24: BEFE0124
	ds_write_b64 v20, v[114:115]                               // 00000000CE28: D89A0000 00007214
	ds_write_b64 v20, v[118:119] offset:2176                   // 00000000CE30: D89A0880 00007614
	ds_write_b64 v20, v[122:123] offset:4352                   // 00000000CE38: D89A1100 00007A14
	ds_write_b64 v20, v[126:127] offset:6528                   // 00000000CE40: D89A1980 00007E14
	ds_write_b64 v20, v[130:131] offset:8704                   // 00000000CE48: D89A2200 00008214
	ds_write_b64 v20, v[134:135] offset:10880                  // 00000000CE50: D89A2A80 00008614
	ds_write_b64 v20, v[138:139] offset:13056                  // 00000000CE58: D89A3300 00008A14
	ds_write_b64 v20, v[142:143] offset:15232                  // 00000000CE60: D89A3B80 00008E14
	s_waitcnt lgkmcnt(0)                                       // 00000000CE68: BF8CC07F
	s_barrier                                                  // 00000000CE6C: BF8A0000
	ds_read_b32 v114, v21                                      // 00000000CE70: D86C0000 72000015
	ds_read_b32 v115, v21 offset:64                            // 00000000CE78: D86C0040 73000015
	ds_read_b32 v118, v21 offset:2176                          // 00000000CE80: D86C0880 76000015
	ds_read_b32 v119, v21 offset:2240                          // 00000000CE88: D86C08C0 77000015
	ds_read_b32 v122, v21 offset:4352                          // 00000000CE90: D86C1100 7A000015
	ds_read_b32 v123, v21 offset:4416                          // 00000000CE98: D86C1140 7B000015
	ds_read_b32 v126, v21 offset:6528                          // 00000000CEA0: D86C1980 7E000015
	ds_read_b32 v127, v21 offset:6592                          // 00000000CEA8: D86C19C0 7F000015
	ds_read_b32 v130, v21 offset:8704                          // 00000000CEB0: D86C2200 82000015
	ds_read_b32 v131, v21 offset:8768                          // 00000000CEB8: D86C2240 83000015
	ds_read_b32 v134, v21 offset:10880                         // 00000000CEC0: D86C2A80 86000015
	ds_read_b32 v135, v21 offset:10944                         // 00000000CEC8: D86C2AC0 87000015
	ds_read_b32 v138, v21 offset:13056                         // 00000000CED0: D86C3300 8A000015
	ds_read_b32 v139, v21 offset:13120                         // 00000000CED8: D86C3340 8B000015
	ds_read_b32 v142, v21 offset:15232                         // 00000000CEE0: D86C3B80 8E000015
	ds_read_b32 v143, v21 offset:15296                         // 00000000CEE8: D86C3BC0 8F000015
	s_waitcnt lgkmcnt(0)                                       // 00000000CEF0: BF8CC07F
	v_mov_b32_e32 v7, 0                                        // 00000000CEF4: 7E0E0280
	s_mov_b64 exec, s[36:37]                                   // 00000000CEF8: BEFE0124
	v_mov_b32_e32 v6, v62                                      // 00000000CEFC: 7E0C033E
	s_mov_b64 s[60:61], 0                                      // 00000000CF00: BEBC0180
	v_readlane_b32 s82, v3, 0                                  // 00000000CF04: D2890052 00010103
	s_and_b32 s82, s82, 0xffffff                               // 00000000CF0C: 8652FF52 00FFFFFF
	s_cmp_lt_u32 s82, s66                                      // 00000000CF14: BF0A4252
	s_cselect_b32 s20, s36, s60                                // 00000000CF18: 85143C24
	v_readlane_b32 s82, v3, 1                                  // 00000000CF1C: D2890052 00010303
	s_and_b32 s82, s82, 0xffffff                               // 00000000CF24: 8652FF52 00FFFFFF
	s_cmp_lt_u32 s82, s66                                      // 00000000CF2C: BF0A4252
	s_cselect_b32 s21, s36, s60                                // 00000000CF30: 85153C24
	s_mov_b64 exec, s[20:21]                                   // 00000000CF34: BEFE0114
	global_atomic_add_f32 v6, v114, s[8:9] offset:8            // 00000000CF38: DD348008 00087206
	s_mov_b64 exec, s[36:37]                                   // 00000000CF40: BEFE0124
	v_mov_b32_e32 v6, v63                                      // 00000000CF44: 7E0C033F
	s_mov_b64 s[60:61], 0                                      // 00000000CF48: BEBC0180
	v_readlane_b32 s82, v3, 2                                  // 00000000CF4C: D2890052 00010503
	s_and_b32 s82, s82, 0xffffff                               // 00000000CF54: 8652FF52 00FFFFFF
	s_cmp_lt_u32 s82, s66                                      // 00000000CF5C: BF0A4252
	s_cselect_b32 s20, s36, s60                                // 00000000CF60: 85143C24
	v_readlane_b32 s82, v3, 3                                  // 00000000CF64: D2890052 00010703
	s_and_b32 s82, s82, 0xffffff                               // 00000000CF6C: 8652FF52 00FFFFFF
	s_cmp_lt_u32 s82, s66                                      // 00000000CF74: BF0A4252
	s_cselect_b32 s21, s36, s60                                // 00000000CF78: 85153C24
	s_mov_b64 exec, s[20:21]                                   // 00000000CF7C: BEFE0114
	global_atomic_add_f32 v6, v115, s[8:9] offset:8            // 00000000CF80: DD348008 00087306
	s_mov_b64 exec, s[36:37]                                   // 00000000CF88: BEFE0124
	v_mov_b32_e32 v6, v64                                      // 00000000CF8C: 7E0C0340
	s_mov_b64 s[60:61], 0                                      // 00000000CF90: BEBC0180
	v_readlane_b32 s82, v3, 4                                  // 00000000CF94: D2890052 00010903
	s_and_b32 s82, s82, 0xffffff                               // 00000000CF9C: 8652FF52 00FFFFFF
	s_cmp_lt_u32 s82, s66                                      // 00000000CFA4: BF0A4252
	s_cselect_b32 s20, s36, s60                                // 00000000CFA8: 85143C24
	v_readlane_b32 s82, v3, 5                                  // 00000000CFAC: D2890052 00010B03
	s_and_b32 s82, s82, 0xffffff                               // 00000000CFB4: 8652FF52 00FFFFFF
	s_cmp_lt_u32 s82, s66                                      // 00000000CFBC: BF0A4252
	s_cselect_b32 s21, s36, s60                                // 00000000CFC0: 85153C24
	s_mov_b64 exec, s[20:21]                                   // 00000000CFC4: BEFE0114
	global_atomic_add_f32 v6, v118, s[8:9] offset:8            // 00000000CFC8: DD348008 00087606
	s_mov_b64 exec, s[36:37]                                   // 00000000CFD0: BEFE0124
	v_mov_b32_e32 v6, v65                                      // 00000000CFD4: 7E0C0341
	s_mov_b64 s[60:61], 0                                      // 00000000CFD8: BEBC0180
	v_readlane_b32 s82, v3, 6                                  // 00000000CFDC: D2890052 00010D03
	s_and_b32 s82, s82, 0xffffff                               // 00000000CFE4: 8652FF52 00FFFFFF
	s_cmp_lt_u32 s82, s66                                      // 00000000CFEC: BF0A4252
	s_cselect_b32 s20, s36, s60                                // 00000000CFF0: 85143C24
	v_readlane_b32 s82, v3, 7                                  // 00000000CFF4: D2890052 00010F03
	s_and_b32 s82, s82, 0xffffff                               // 00000000CFFC: 8652FF52 00FFFFFF
	s_cmp_lt_u32 s82, s66                                      // 00000000D004: BF0A4252
	s_cselect_b32 s21, s36, s60                                // 00000000D008: 85153C24
	s_mov_b64 exec, s[20:21]                                   // 00000000D00C: BEFE0114
	global_atomic_add_f32 v6, v119, s[8:9] offset:8            // 00000000D010: DD348008 00087706
	s_mov_b64 exec, s[36:37]                                   // 00000000D018: BEFE0124
	v_mov_b32_e32 v6, v66                                      // 00000000D01C: 7E0C0342
	s_mov_b64 s[60:61], 0                                      // 00000000D020: BEBC0180
	v_readlane_b32 s82, v3, 8                                  // 00000000D024: D2890052 00011103
	s_and_b32 s82, s82, 0xffffff                               // 00000000D02C: 8652FF52 00FFFFFF
	s_cmp_lt_u32 s82, s66                                      // 00000000D034: BF0A4252
	s_cselect_b32 s20, s36, s60                                // 00000000D038: 85143C24
	v_readlane_b32 s82, v3, 9                                  // 00000000D03C: D2890052 00011303
	s_and_b32 s82, s82, 0xffffff                               // 00000000D044: 8652FF52 00FFFFFF
	s_cmp_lt_u32 s82, s66                                      // 00000000D04C: BF0A4252
	s_cselect_b32 s21, s36, s60                                // 00000000D050: 85153C24
	s_mov_b64 exec, s[20:21]                                   // 00000000D054: BEFE0114
	global_atomic_add_f32 v6, v122, s[8:9] offset:8            // 00000000D058: DD348008 00087A06
	s_mov_b64 exec, s[36:37]                                   // 00000000D060: BEFE0124
	v_mov_b32_e32 v6, v67                                      // 00000000D064: 7E0C0343
	s_mov_b64 s[60:61], 0                                      // 00000000D068: BEBC0180
	v_readlane_b32 s82, v3, 10                                 // 00000000D06C: D2890052 00011503
	s_and_b32 s82, s82, 0xffffff                               // 00000000D074: 8652FF52 00FFFFFF
	s_cmp_lt_u32 s82, s66                                      // 00000000D07C: BF0A4252
	s_cselect_b32 s20, s36, s60                                // 00000000D080: 85143C24
	v_readlane_b32 s82, v3, 11                                 // 00000000D084: D2890052 00011703
	s_and_b32 s82, s82, 0xffffff                               // 00000000D08C: 8652FF52 00FFFFFF
	s_cmp_lt_u32 s82, s66                                      // 00000000D094: BF0A4252
	s_cselect_b32 s21, s36, s60                                // 00000000D098: 85153C24
	s_mov_b64 exec, s[20:21]                                   // 00000000D09C: BEFE0114
	global_atomic_add_f32 v6, v123, s[8:9] offset:8            // 00000000D0A0: DD348008 00087B06
	s_mov_b64 exec, s[36:37]                                   // 00000000D0A8: BEFE0124
	v_mov_b32_e32 v6, v68                                      // 00000000D0AC: 7E0C0344
	s_mov_b64 s[60:61], 0                                      // 00000000D0B0: BEBC0180
	v_readlane_b32 s82, v3, 12                                 // 00000000D0B4: D2890052 00011903
	s_and_b32 s82, s82, 0xffffff                               // 00000000D0BC: 8652FF52 00FFFFFF
	s_cmp_lt_u32 s82, s66                                      // 00000000D0C4: BF0A4252
	s_cselect_b32 s20, s36, s60                                // 00000000D0C8: 85143C24
	v_readlane_b32 s82, v3, 13                                 // 00000000D0CC: D2890052 00011B03
	s_and_b32 s82, s82, 0xffffff                               // 00000000D0D4: 8652FF52 00FFFFFF
	s_cmp_lt_u32 s82, s66                                      // 00000000D0DC: BF0A4252
	s_cselect_b32 s21, s36, s60                                // 00000000D0E0: 85153C24
	s_mov_b64 exec, s[20:21]                                   // 00000000D0E4: BEFE0114
	global_atomic_add_f32 v6, v126, s[8:9] offset:8            // 00000000D0E8: DD348008 00087E06
	s_mov_b64 exec, s[36:37]                                   // 00000000D0F0: BEFE0124
	v_mov_b32_e32 v6, v69                                      // 00000000D0F4: 7E0C0345
	s_mov_b64 s[60:61], 0                                      // 00000000D0F8: BEBC0180
	v_readlane_b32 s82, v3, 14                                 // 00000000D0FC: D2890052 00011D03
	s_and_b32 s82, s82, 0xffffff                               // 00000000D104: 8652FF52 00FFFFFF
	s_cmp_lt_u32 s82, s66                                      // 00000000D10C: BF0A4252
	s_cselect_b32 s20, s36, s60                                // 00000000D110: 85143C24
	v_readlane_b32 s82, v3, 15                                 // 00000000D114: D2890052 00011F03
	s_and_b32 s82, s82, 0xffffff                               // 00000000D11C: 8652FF52 00FFFFFF
	s_cmp_lt_u32 s82, s66                                      // 00000000D124: BF0A4252
	s_cselect_b32 s21, s36, s60                                // 00000000D128: 85153C24
	s_mov_b64 exec, s[20:21]                                   // 00000000D12C: BEFE0114
	global_atomic_add_f32 v6, v127, s[8:9] offset:8            // 00000000D130: DD348008 00087F06
	s_mov_b64 exec, s[36:37]                                   // 00000000D138: BEFE0124
	v_mov_b32_e32 v6, v70                                      // 00000000D13C: 7E0C0346
	s_mov_b64 s[60:61], 0                                      // 00000000D140: BEBC0180
	v_readlane_b32 s82, v3, 16                                 // 00000000D144: D2890052 00012103
	s_and_b32 s82, s82, 0xffffff                               // 00000000D14C: 8652FF52 00FFFFFF
	s_cmp_lt_u32 s82, s66                                      // 00000000D154: BF0A4252
	s_cselect_b32 s20, s36, s60                                // 00000000D158: 85143C24
	v_readlane_b32 s82, v3, 17                                 // 00000000D15C: D2890052 00012303
	s_and_b32 s82, s82, 0xffffff                               // 00000000D164: 8652FF52 00FFFFFF
	s_cmp_lt_u32 s82, s66                                      // 00000000D16C: BF0A4252
	s_cselect_b32 s21, s36, s60                                // 00000000D170: 85153C24
	s_mov_b64 exec, s[20:21]                                   // 00000000D174: BEFE0114
	global_atomic_add_f32 v6, v130, s[8:9] offset:8            // 00000000D178: DD348008 00088206
	s_mov_b64 exec, s[36:37]                                   // 00000000D180: BEFE0124
	v_mov_b32_e32 v6, v71                                      // 00000000D184: 7E0C0347
	s_mov_b64 s[60:61], 0                                      // 00000000D188: BEBC0180
	v_readlane_b32 s82, v3, 18                                 // 00000000D18C: D2890052 00012503
	s_and_b32 s82, s82, 0xffffff                               // 00000000D194: 8652FF52 00FFFFFF
	s_cmp_lt_u32 s82, s66                                      // 00000000D19C: BF0A4252
	s_cselect_b32 s20, s36, s60                                // 00000000D1A0: 85143C24
	v_readlane_b32 s82, v3, 19                                 // 00000000D1A4: D2890052 00012703
	s_and_b32 s82, s82, 0xffffff                               // 00000000D1AC: 8652FF52 00FFFFFF
	s_cmp_lt_u32 s82, s66                                      // 00000000D1B4: BF0A4252
	s_cselect_b32 s21, s36, s60                                // 00000000D1B8: 85153C24
	s_mov_b64 exec, s[20:21]                                   // 00000000D1BC: BEFE0114
	global_atomic_add_f32 v6, v131, s[8:9] offset:8            // 00000000D1C0: DD348008 00088306
	s_mov_b64 exec, s[36:37]                                   // 00000000D1C8: BEFE0124
	v_mov_b32_e32 v6, v72                                      // 00000000D1CC: 7E0C0348
	s_mov_b64 s[60:61], 0                                      // 00000000D1D0: BEBC0180
	v_readlane_b32 s82, v3, 20                                 // 00000000D1D4: D2890052 00012903
	s_and_b32 s82, s82, 0xffffff                               // 00000000D1DC: 8652FF52 00FFFFFF
	s_cmp_lt_u32 s82, s66                                      // 00000000D1E4: BF0A4252
	s_cselect_b32 s20, s36, s60                                // 00000000D1E8: 85143C24
	v_readlane_b32 s82, v3, 21                                 // 00000000D1EC: D2890052 00012B03
	s_and_b32 s82, s82, 0xffffff                               // 00000000D1F4: 8652FF52 00FFFFFF
	s_cmp_lt_u32 s82, s66                                      // 00000000D1FC: BF0A4252
	s_cselect_b32 s21, s36, s60                                // 00000000D200: 85153C24
	s_mov_b64 exec, s[20:21]                                   // 00000000D204: BEFE0114
	global_atomic_add_f32 v6, v134, s[8:9] offset:8            // 00000000D208: DD348008 00088606
	s_mov_b64 exec, s[36:37]                                   // 00000000D210: BEFE0124
	v_mov_b32_e32 v6, v73                                      // 00000000D214: 7E0C0349
	s_mov_b64 s[60:61], 0                                      // 00000000D218: BEBC0180
	v_readlane_b32 s82, v3, 22                                 // 00000000D21C: D2890052 00012D03
	s_and_b32 s82, s82, 0xffffff                               // 00000000D224: 8652FF52 00FFFFFF
	s_cmp_lt_u32 s82, s66                                      // 00000000D22C: BF0A4252
	s_cselect_b32 s20, s36, s60                                // 00000000D230: 85143C24
	v_readlane_b32 s82, v3, 23                                 // 00000000D234: D2890052 00012F03
	s_and_b32 s82, s82, 0xffffff                               // 00000000D23C: 8652FF52 00FFFFFF
	s_cmp_lt_u32 s82, s66                                      // 00000000D244: BF0A4252
	s_cselect_b32 s21, s36, s60                                // 00000000D248: 85153C24
	s_mov_b64 exec, s[20:21]                                   // 00000000D24C: BEFE0114
	global_atomic_add_f32 v6, v135, s[8:9] offset:8            // 00000000D250: DD348008 00088706
	s_mov_b64 exec, s[36:37]                                   // 00000000D258: BEFE0124
	v_mov_b32_e32 v6, v74                                      // 00000000D25C: 7E0C034A
	s_mov_b64 s[60:61], 0                                      // 00000000D260: BEBC0180
	v_readlane_b32 s82, v3, 24                                 // 00000000D264: D2890052 00013103
	s_and_b32 s82, s82, 0xffffff                               // 00000000D26C: 8652FF52 00FFFFFF
	s_cmp_lt_u32 s82, s66                                      // 00000000D274: BF0A4252
	s_cselect_b32 s20, s36, s60                                // 00000000D278: 85143C24
	v_readlane_b32 s82, v3, 25                                 // 00000000D27C: D2890052 00013303
	s_and_b32 s82, s82, 0xffffff                               // 00000000D284: 8652FF52 00FFFFFF
	s_cmp_lt_u32 s82, s66                                      // 00000000D28C: BF0A4252
	s_cselect_b32 s21, s36, s60                                // 00000000D290: 85153C24
	s_mov_b64 exec, s[20:21]                                   // 00000000D294: BEFE0114
	global_atomic_add_f32 v6, v138, s[8:9] offset:8            // 00000000D298: DD348008 00088A06
	s_mov_b64 exec, s[36:37]                                   // 00000000D2A0: BEFE0124
	v_mov_b32_e32 v6, v75                                      // 00000000D2A4: 7E0C034B
	s_mov_b64 s[60:61], 0                                      // 00000000D2A8: BEBC0180
	v_readlane_b32 s82, v3, 26                                 // 00000000D2AC: D2890052 00013503
	s_and_b32 s82, s82, 0xffffff                               // 00000000D2B4: 8652FF52 00FFFFFF
	s_cmp_lt_u32 s82, s66                                      // 00000000D2BC: BF0A4252
	s_cselect_b32 s20, s36, s60                                // 00000000D2C0: 85143C24
	v_readlane_b32 s82, v3, 27                                 // 00000000D2C4: D2890052 00013703
	s_and_b32 s82, s82, 0xffffff                               // 00000000D2CC: 8652FF52 00FFFFFF
	s_cmp_lt_u32 s82, s66                                      // 00000000D2D4: BF0A4252
	s_cselect_b32 s21, s36, s60                                // 00000000D2D8: 85153C24
	s_mov_b64 exec, s[20:21]                                   // 00000000D2DC: BEFE0114
	global_atomic_add_f32 v6, v139, s[8:9] offset:8            // 00000000D2E0: DD348008 00088B06
	s_mov_b64 exec, s[36:37]                                   // 00000000D2E8: BEFE0124
	v_mov_b32_e32 v6, v76                                      // 00000000D2EC: 7E0C034C
	s_mov_b64 s[60:61], 0                                      // 00000000D2F0: BEBC0180
	v_readlane_b32 s82, v3, 28                                 // 00000000D2F4: D2890052 00013903
	s_and_b32 s82, s82, 0xffffff                               // 00000000D2FC: 8652FF52 00FFFFFF
	s_cmp_lt_u32 s82, s66                                      // 00000000D304: BF0A4252
	s_cselect_b32 s20, s36, s60                                // 00000000D308: 85143C24
	v_readlane_b32 s82, v3, 29                                 // 00000000D30C: D2890052 00013B03
	s_and_b32 s82, s82, 0xffffff                               // 00000000D314: 8652FF52 00FFFFFF
	s_cmp_lt_u32 s82, s66                                      // 00000000D31C: BF0A4252
	s_cselect_b32 s21, s36, s60                                // 00000000D320: 85153C24
	s_mov_b64 exec, s[20:21]                                   // 00000000D324: BEFE0114
	global_atomic_add_f32 v6, v142, s[8:9] offset:8            // 00000000D328: DD348008 00088E06
	s_mov_b64 exec, s[36:37]                                   // 00000000D330: BEFE0124
	v_mov_b32_e32 v6, v77                                      // 00000000D334: 7E0C034D
	s_mov_b64 s[60:61], 0                                      // 00000000D338: BEBC0180
	v_readlane_b32 s82, v3, 30                                 // 00000000D33C: D2890052 00013D03
	s_and_b32 s82, s82, 0xffffff                               // 00000000D344: 8652FF52 00FFFFFF
	s_cmp_lt_u32 s82, s66                                      // 00000000D34C: BF0A4252
	s_cselect_b32 s20, s36, s60                                // 00000000D350: 85143C24
	v_readlane_b32 s82, v3, 31                                 // 00000000D354: D2890052 00013F03
	s_and_b32 s82, s82, 0xffffff                               // 00000000D35C: 8652FF52 00FFFFFF
	s_cmp_lt_u32 s82, s66                                      // 00000000D364: BF0A4252
	s_cselect_b32 s21, s36, s60                                // 00000000D368: 85153C24
	s_mov_b64 exec, s[20:21]                                   // 00000000D36C: BEFE0114
	global_atomic_add_f32 v6, v143, s[8:9] offset:8            // 00000000D370: DD348008 00088F06
	s_mov_b64 exec, s[36:37]                                   // 00000000D378: BEFE0124
	s_branch label_2A63                                        // 00000000D37C: BF820000

000000000000d380 <label_2A63>:
	s_waitcnt vmcnt(0) expcnt(0) lgkmcnt(0)                    // 00000000D380: BF8C0000
	s_endpgm                                                   // 00000000D384: BF810000
